;; amdgpu-corpus repo=ROCm/rocFFT kind=compiled arch=gfx906 opt=O3
	.text
	.amdgcn_target "amdgcn-amd-amdhsa--gfx906"
	.amdhsa_code_object_version 6
	.protected	fft_rtc_fwd_len595_factors_7_17_5_wgs_51_tpt_17_halfLds_dp_op_CI_CI_sbrr_dirReg ; -- Begin function fft_rtc_fwd_len595_factors_7_17_5_wgs_51_tpt_17_halfLds_dp_op_CI_CI_sbrr_dirReg
	.globl	fft_rtc_fwd_len595_factors_7_17_5_wgs_51_tpt_17_halfLds_dp_op_CI_CI_sbrr_dirReg
	.p2align	8
	.type	fft_rtc_fwd_len595_factors_7_17_5_wgs_51_tpt_17_halfLds_dp_op_CI_CI_sbrr_dirReg,@function
fft_rtc_fwd_len595_factors_7_17_5_wgs_51_tpt_17_halfLds_dp_op_CI_CI_sbrr_dirReg: ; @fft_rtc_fwd_len595_factors_7_17_5_wgs_51_tpt_17_halfLds_dp_op_CI_CI_sbrr_dirReg
; %bb.0:
	s_load_dwordx4 s[16:19], s[4:5], 0x18
	s_load_dwordx4 s[12:15], s[4:5], 0x0
	;; [unrolled: 1-line block ×3, first 2 shown]
	v_mul_u32_u24_e32 v1, 0xf10, v0
	s_mov_b64 s[66:67], s[2:3]
	v_lshrrev_b32_e32 v1, 16, v1
	s_mov_b64 s[64:65], s[0:1]
	s_waitcnt lgkmcnt(0)
	s_load_dwordx2 s[20:21], s[16:17], 0x0
	s_load_dwordx2 s[2:3], s[18:19], 0x0
	v_mad_u64_u32 v[4:5], s[0:1], s6, 3, v[1:2]
	v_mov_b32_e32 v1, 0
	v_mov_b32_e32 v6, 0
	;; [unrolled: 1-line block ×3, first 2 shown]
	v_cmp_lt_u64_e64 s[0:1], s[14:15], 2
	v_mov_b32_e32 v7, 0
	s_add_u32 s64, s64, s7
	v_mov_b32_e32 v231, v7
	v_mov_b32_e32 v233, v5
	s_addc_u32 s65, s65, 0
	s_and_b64 vcc, exec, s[0:1]
	v_mov_b32_e32 v230, v6
	v_mov_b32_e32 v232, v4
	s_cbranch_vccnz .LBB0_8
; %bb.1:
	s_load_dwordx2 s[0:1], s[4:5], 0x10
	s_add_u32 s6, s18, 8
	s_addc_u32 s7, s19, 0
	s_add_u32 s22, s16, 8
	v_mov_b32_e32 v6, 0
	s_addc_u32 s23, s17, 0
	v_mov_b32_e32 v7, 0
	s_waitcnt lgkmcnt(0)
	s_add_u32 s24, s0, 8
	v_mov_b32_e32 v231, v7
	v_mov_b32_e32 v9, v5
	s_addc_u32 s25, s1, 0
	s_mov_b64 s[26:27], 1
	v_mov_b32_e32 v230, v6
	v_mov_b32_e32 v8, v4
.LBB0_2:                                ; =>This Inner Loop Header: Depth=1
	s_load_dwordx2 s[28:29], s[24:25], 0x0
                                        ; implicit-def: $vgpr232_vgpr233
	s_waitcnt lgkmcnt(0)
	v_or_b32_e32 v2, s29, v9
	v_cmp_ne_u64_e32 vcc, 0, v[1:2]
	s_and_saveexec_b64 s[0:1], vcc
	s_xor_b64 s[30:31], exec, s[0:1]
	s_cbranch_execz .LBB0_4
; %bb.3:                                ;   in Loop: Header=BB0_2 Depth=1
	v_cvt_f32_u32_e32 v2, s28
	v_cvt_f32_u32_e32 v3, s29
	s_sub_u32 s0, 0, s28
	s_subb_u32 s1, 0, s29
	v_mac_f32_e32 v2, 0x4f800000, v3
	v_rcp_f32_e32 v2, v2
	v_mul_f32_e32 v2, 0x5f7ffffc, v2
	v_mul_f32_e32 v3, 0x2f800000, v2
	v_trunc_f32_e32 v3, v3
	v_mac_f32_e32 v2, 0xcf800000, v3
	v_cvt_u32_f32_e32 v3, v3
	v_cvt_u32_f32_e32 v2, v2
	v_mul_lo_u32 v5, s0, v3
	v_mul_hi_u32 v10, s0, v2
	v_mul_lo_u32 v12, s1, v2
	v_mul_lo_u32 v11, s0, v2
	v_add_u32_e32 v5, v10, v5
	v_add_u32_e32 v5, v5, v12
	v_mul_hi_u32 v10, v2, v11
	v_mul_lo_u32 v12, v2, v5
	v_mul_hi_u32 v14, v2, v5
	v_mul_hi_u32 v13, v3, v11
	v_mul_lo_u32 v11, v3, v11
	v_mul_hi_u32 v15, v3, v5
	v_add_co_u32_e32 v10, vcc, v10, v12
	v_addc_co_u32_e32 v12, vcc, 0, v14, vcc
	v_mul_lo_u32 v5, v3, v5
	v_add_co_u32_e32 v10, vcc, v10, v11
	v_addc_co_u32_e32 v10, vcc, v12, v13, vcc
	v_addc_co_u32_e32 v11, vcc, 0, v15, vcc
	v_add_co_u32_e32 v5, vcc, v10, v5
	v_addc_co_u32_e32 v10, vcc, 0, v11, vcc
	v_add_co_u32_e32 v2, vcc, v2, v5
	v_addc_co_u32_e32 v3, vcc, v3, v10, vcc
	v_mul_lo_u32 v5, s0, v3
	v_mul_hi_u32 v10, s0, v2
	v_mul_lo_u32 v11, s1, v2
	v_mul_lo_u32 v12, s0, v2
	v_add_u32_e32 v5, v10, v5
	v_add_u32_e32 v5, v5, v11
	v_mul_lo_u32 v13, v2, v5
	v_mul_hi_u32 v14, v2, v12
	v_mul_hi_u32 v15, v2, v5
	;; [unrolled: 1-line block ×3, first 2 shown]
	v_mul_lo_u32 v12, v3, v12
	v_mul_hi_u32 v10, v3, v5
	v_add_co_u32_e32 v13, vcc, v14, v13
	v_addc_co_u32_e32 v14, vcc, 0, v15, vcc
	v_mul_lo_u32 v5, v3, v5
	v_add_co_u32_e32 v12, vcc, v13, v12
	v_addc_co_u32_e32 v11, vcc, v14, v11, vcc
	v_addc_co_u32_e32 v10, vcc, 0, v10, vcc
	v_add_co_u32_e32 v5, vcc, v11, v5
	v_addc_co_u32_e32 v10, vcc, 0, v10, vcc
	v_add_co_u32_e32 v5, vcc, v2, v5
	v_addc_co_u32_e32 v10, vcc, v3, v10, vcc
	v_mad_u64_u32 v[2:3], s[0:1], v8, v10, 0
	v_mul_hi_u32 v11, v8, v5
	v_add_co_u32_e32 v12, vcc, v11, v2
	v_addc_co_u32_e32 v13, vcc, 0, v3, vcc
	v_mad_u64_u32 v[2:3], s[0:1], v9, v5, 0
	v_mad_u64_u32 v[10:11], s[0:1], v9, v10, 0
	v_add_co_u32_e32 v2, vcc, v12, v2
	v_addc_co_u32_e32 v2, vcc, v13, v3, vcc
	v_addc_co_u32_e32 v3, vcc, 0, v11, vcc
	v_add_co_u32_e32 v5, vcc, v2, v10
	v_addc_co_u32_e32 v10, vcc, 0, v3, vcc
	v_mul_lo_u32 v11, s29, v5
	v_mul_lo_u32 v12, s28, v10
	v_mad_u64_u32 v[2:3], s[0:1], s28, v5, 0
	v_add3_u32 v3, v3, v12, v11
	v_sub_u32_e32 v11, v9, v3
	v_mov_b32_e32 v12, s29
	v_sub_co_u32_e32 v2, vcc, v8, v2
	v_subb_co_u32_e64 v11, s[0:1], v11, v12, vcc
	v_subrev_co_u32_e64 v12, s[0:1], s28, v2
	v_subbrev_co_u32_e64 v11, s[0:1], 0, v11, s[0:1]
	v_cmp_le_u32_e64 s[0:1], s29, v11
	v_cndmask_b32_e64 v13, 0, -1, s[0:1]
	v_cmp_le_u32_e64 s[0:1], s28, v12
	v_cndmask_b32_e64 v12, 0, -1, s[0:1]
	v_cmp_eq_u32_e64 s[0:1], s29, v11
	v_cndmask_b32_e64 v11, v13, v12, s[0:1]
	v_add_co_u32_e64 v12, s[0:1], 2, v5
	v_addc_co_u32_e64 v13, s[0:1], 0, v10, s[0:1]
	v_add_co_u32_e64 v14, s[0:1], 1, v5
	v_addc_co_u32_e64 v15, s[0:1], 0, v10, s[0:1]
	v_subb_co_u32_e32 v3, vcc, v9, v3, vcc
	v_cmp_ne_u32_e64 s[0:1], 0, v11
	v_cmp_le_u32_e32 vcc, s29, v3
	v_cndmask_b32_e64 v11, v15, v13, s[0:1]
	v_cndmask_b32_e64 v13, 0, -1, vcc
	v_cmp_le_u32_e32 vcc, s28, v2
	v_cndmask_b32_e64 v2, 0, -1, vcc
	v_cmp_eq_u32_e32 vcc, s29, v3
	v_cndmask_b32_e32 v2, v13, v2, vcc
	v_cmp_ne_u32_e32 vcc, 0, v2
	v_cndmask_b32_e64 v2, v14, v12, s[0:1]
	v_cndmask_b32_e32 v233, v10, v11, vcc
	v_cndmask_b32_e32 v232, v5, v2, vcc
.LBB0_4:                                ;   in Loop: Header=BB0_2 Depth=1
	s_andn2_saveexec_b64 s[0:1], s[30:31]
	s_cbranch_execz .LBB0_6
; %bb.5:                                ;   in Loop: Header=BB0_2 Depth=1
	v_cvt_f32_u32_e32 v2, s28
	s_sub_i32 s30, 0, s28
	v_mov_b32_e32 v233, v1
	v_rcp_iflag_f32_e32 v2, v2
	v_mul_f32_e32 v2, 0x4f7ffffe, v2
	v_cvt_u32_f32_e32 v2, v2
	v_mul_lo_u32 v3, s30, v2
	v_mul_hi_u32 v3, v2, v3
	v_add_u32_e32 v2, v2, v3
	v_mul_hi_u32 v2, v8, v2
	v_mul_lo_u32 v3, v2, s28
	v_add_u32_e32 v5, 1, v2
	v_sub_u32_e32 v3, v8, v3
	v_subrev_u32_e32 v10, s28, v3
	v_cmp_le_u32_e32 vcc, s28, v3
	v_cndmask_b32_e32 v3, v3, v10, vcc
	v_cndmask_b32_e32 v2, v2, v5, vcc
	v_add_u32_e32 v5, 1, v2
	v_cmp_le_u32_e32 vcc, s28, v3
	v_cndmask_b32_e32 v232, v2, v5, vcc
.LBB0_6:                                ;   in Loop: Header=BB0_2 Depth=1
	s_or_b64 exec, exec, s[0:1]
	v_mul_lo_u32 v5, v233, s28
	v_mul_lo_u32 v10, v232, s29
	v_mad_u64_u32 v[2:3], s[0:1], v232, s28, 0
	s_load_dwordx2 s[0:1], s[22:23], 0x0
	s_load_dwordx2 s[28:29], s[6:7], 0x0
	v_add3_u32 v3, v3, v10, v5
	v_sub_co_u32_e32 v2, vcc, v8, v2
	v_subb_co_u32_e32 v3, vcc, v9, v3, vcc
	s_waitcnt lgkmcnt(0)
	v_mul_lo_u32 v5, s0, v3
	v_mul_lo_u32 v8, s1, v2
	v_mad_u64_u32 v[6:7], s[0:1], s0, v2, v[6:7]
	v_mul_lo_u32 v3, s28, v3
	v_mul_lo_u32 v9, s29, v2
	v_mad_u64_u32 v[230:231], s[0:1], s28, v2, v[230:231]
	s_add_u32 s26, s26, 1
	s_addc_u32 s27, s27, 0
	s_add_u32 s6, s6, 8
	v_add3_u32 v231, v9, v231, v3
	s_addc_u32 s7, s7, 0
	v_mov_b32_e32 v2, s14
	s_add_u32 s22, s22, 8
	v_mov_b32_e32 v3, s15
	s_addc_u32 s23, s23, 0
	v_cmp_ge_u64_e32 vcc, s[26:27], v[2:3]
	s_add_u32 s24, s24, 8
	v_add3_u32 v7, v8, v7, v5
	s_addc_u32 s25, s25, 0
	s_cbranch_vccnz .LBB0_8
; %bb.7:                                ;   in Loop: Header=BB0_2 Depth=1
	v_mov_b32_e32 v8, v232
	v_mov_b32_e32 v9, v233
	s_branch .LBB0_2
.LBB0_8:
	s_load_dwordx2 s[0:1], s[4:5], 0x28
	s_lshl_b64 s[14:15], s[14:15], 3
	s_add_u32 s4, s18, s14
	s_addc_u32 s5, s19, s15
                                        ; implicit-def: $vgpr234
                                        ; implicit-def: $vgpr235
                                        ; implicit-def: $vgpr236
                                        ; implicit-def: $vgpr136
                                        ; implicit-def: $vgpr137
	s_waitcnt lgkmcnt(0)
	v_cmp_gt_u64_e32 vcc, s[0:1], v[232:233]
	v_cmp_le_u64_e64 s[0:1], s[0:1], v[232:233]
	s_and_saveexec_b64 s[6:7], s[0:1]
	s_xor_b64 s[0:1], exec, s[6:7]
; %bb.9:
	s_mov_b32 s6, 0xf0f0f10
	v_mul_hi_u32 v1, v0, s6
                                        ; implicit-def: $vgpr6_vgpr7
	v_mul_u32_u24_e32 v1, 17, v1
	v_sub_u32_e32 v234, v0, v1
	v_add_u32_e32 v235, 17, v234
	v_add_u32_e32 v236, 34, v234
	;; [unrolled: 1-line block ×4, first 2 shown]
                                        ; implicit-def: $vgpr0
; %bb.10:
	s_or_saveexec_b64 s[6:7], s[0:1]
                                        ; implicit-def: $vgpr94_vgpr95
                                        ; implicit-def: $vgpr90_vgpr91
                                        ; implicit-def: $vgpr82_vgpr83
                                        ; implicit-def: $vgpr78_vgpr79
                                        ; implicit-def: $vgpr86_vgpr87
                                        ; implicit-def: $vgpr70_vgpr71
                                        ; implicit-def: $vgpr2_vgpr3
                                        ; implicit-def: $vgpr116_vgpr117
                                        ; implicit-def: $vgpr132_vgpr133
                                        ; implicit-def: $vgpr124_vgpr125
                                        ; implicit-def: $vgpr120_vgpr121
                                        ; implicit-def: $vgpr128_vgpr129
                                        ; implicit-def: $vgpr112_vgpr113
                                        ; implicit-def: $vgpr104_vgpr105
                                        ; implicit-def: $vgpr162_vgpr163
                                        ; implicit-def: $vgpr170_vgpr171
                                        ; implicit-def: $vgpr166_vgpr167
                                        ; implicit-def: $vgpr154_vgpr155
                                        ; implicit-def: $vgpr158_vgpr159
                                        ; implicit-def: $vgpr146_vgpr147
                                        ; implicit-def: $vgpr142_vgpr143
                                        ; implicit-def: $vgpr200_vgpr201
                                        ; implicit-def: $vgpr196_vgpr197
                                        ; implicit-def: $vgpr184_vgpr185
                                        ; implicit-def: $vgpr180_vgpr181
                                        ; implicit-def: $vgpr188_vgpr189
                                        ; implicit-def: $vgpr192_vgpr193
                                        ; implicit-def: $vgpr176_vgpr177
                                        ; implicit-def: $vgpr212_vgpr213
                                        ; implicit-def: $vgpr228_vgpr229
                                        ; implicit-def: $vgpr220_vgpr221
                                        ; implicit-def: $vgpr216_vgpr217
                                        ; implicit-def: $vgpr224_vgpr225
                                        ; implicit-def: $vgpr208_vgpr209
                                        ; implicit-def: $vgpr204_vgpr205
	s_xor_b64 exec, exec, s[6:7]
	s_cbranch_execz .LBB0_12
; %bb.11:
	s_add_u32 s0, s16, s14
	s_mov_b32 s14, 0xf0f0f10
	s_addc_u32 s1, s17, s15
	v_mul_hi_u32 v1, v0, s14
	s_load_dwordx2 s[0:1], s[0:1], 0x0
	v_mul_u32_u24_e32 v1, 17, v1
	v_sub_u32_e32 v234, v0, v1
	s_waitcnt lgkmcnt(0)
	v_mul_lo_u32 v5, s1, v232
	v_mad_u64_u32 v[0:1], s[14:15], s20, v234, 0
	v_mul_lo_u32 v10, s0, v233
	v_mad_u64_u32 v[2:3], s[0:1], s0, v232, 0
	v_add_u32_e32 v11, 0xff, v234
	v_add_u32_e32 v13, 0x154, v234
	v_mad_u64_u32 v[8:9], s[0:1], s21, v234, v[1:2]
	v_add3_u32 v3, v3, v10, v5
	v_lshlrev_b64 v[2:3], 4, v[2:3]
	v_mov_b32_e32 v1, v8
	v_mov_b32_e32 v5, s9
	v_add_co_u32_e64 v8, s[0:1], s8, v2
	v_addc_co_u32_e64 v9, s[0:1], v5, v3, s[0:1]
	v_lshlrev_b64 v[2:3], 4, v[6:7]
	v_add_u32_e32 v7, 0x55, v234
	v_mad_u64_u32 v[5:6], s[0:1], s20, v7, 0
	v_add_co_u32_e64 v31, s[0:1], v8, v2
	v_mov_b32_e32 v2, v6
	v_addc_co_u32_e64 v32, s[0:1], v9, v3, s[0:1]
	v_mad_u64_u32 v[2:3], s[0:1], s21, v7, v[2:3]
	v_add_u32_e32 v9, 0xaa, v234
	v_mad_u64_u32 v[7:8], s[0:1], s20, v9, 0
	v_lshlrev_b64 v[0:1], 4, v[0:1]
	v_mov_b32_e32 v6, v2
	v_add_co_u32_e64 v0, s[0:1], v31, v0
	v_lshlrev_b64 v[2:3], 4, v[5:6]
	v_mov_b32_e32 v5, v8
	v_addc_co_u32_e64 v1, s[0:1], v32, v1, s[0:1]
	v_mad_u64_u32 v[5:6], s[0:1], s21, v9, v[5:6]
	v_mad_u64_u32 v[9:10], s[0:1], s20, v11, 0
	v_mov_b32_e32 v8, v5
	v_add_co_u32_e64 v2, s[0:1], v31, v2
	v_lshlrev_b64 v[5:6], 4, v[7:8]
	v_mov_b32_e32 v7, v10
	v_addc_co_u32_e64 v3, s[0:1], v32, v3, s[0:1]
	v_mad_u64_u32 v[7:8], s[0:1], s21, v11, v[7:8]
	v_mad_u64_u32 v[11:12], s[0:1], s20, v13, 0
	v_mov_b32_e32 v10, v7
	v_add_co_u32_e64 v5, s[0:1], v31, v5
	v_lshlrev_b64 v[7:8], 4, v[9:10]
	v_mov_b32_e32 v9, v12
	v_addc_co_u32_e64 v6, s[0:1], v32, v6, s[0:1]
	v_mad_u64_u32 v[9:10], s[0:1], s21, v13, v[9:10]
	v_add_u32_e32 v15, 0x1a9, v234
	v_mad_u64_u32 v[13:14], s[0:1], s20, v15, 0
	v_mov_b32_e32 v12, v9
	v_add_co_u32_e64 v7, s[0:1], v31, v7
	v_lshlrev_b64 v[9:10], 4, v[11:12]
	v_mov_b32_e32 v11, v14
	v_addc_co_u32_e64 v8, s[0:1], v32, v8, s[0:1]
	v_mad_u64_u32 v[11:12], s[0:1], s21, v15, v[11:12]
	v_add_u32_e32 v17, 0x1fe, v234
	;; [unrolled: 8-line block ×15, first 2 shown]
	v_mad_u64_u32 v[43:44], s[0:1], s20, v45, 0
	v_mov_b32_e32 v42, v39
	v_add_co_u32_e64 v37, s[0:1], v31, v37
	v_lshlrev_b64 v[39:40], 4, v[41:42]
	v_mov_b32_e32 v41, v44
	v_addc_co_u32_e64 v38, s[0:1], v32, v38, s[0:1]
	v_mad_u64_u32 v[41:42], s[0:1], s21, v45, v[41:42]
	v_or_b32_e32 v47, 0x220, v234
	v_mad_u64_u32 v[45:46], s[0:1], s20, v47, 0
	v_mov_b32_e32 v44, v41
	v_add_co_u32_e64 v39, s[0:1], v31, v39
	v_lshlrev_b64 v[41:42], 4, v[43:44]
	v_mov_b32_e32 v43, v46
	v_addc_co_u32_e64 v40, s[0:1], v32, v40, s[0:1]
	v_mad_u64_u32 v[43:44], s[0:1], s21, v47, v[43:44]
	v_add_u32_e32 v136, 51, v234
	v_mad_u64_u32 v[47:48], s[0:1], s20, v136, 0
	v_mov_b32_e32 v46, v43
	v_add_co_u32_e64 v41, s[0:1], v31, v41
	v_lshlrev_b64 v[43:44], 4, v[45:46]
	v_mov_b32_e32 v45, v48
	v_addc_co_u32_e64 v42, s[0:1], v32, v42, s[0:1]
	v_mad_u64_u32 v[45:46], s[0:1], s21, v136, v[45:46]
	v_add_u32_e32 v51, 0x88, v234
	;; [unrolled: 8-line block ×14, first 2 shown]
	v_mad_u64_u32 v[73:74], s[0:1], s20, v70, 0
	v_add_co_u32_e64 v80, s[0:1], v31, v67
	v_mov_b32_e32 v72, v69
	v_mov_b32_e32 v69, v74
	v_addc_co_u32_e64 v81, s[0:1], v32, v68, s[0:1]
	v_mad_u64_u32 v[69:70], s[0:1], s21, v70, v[69:70]
	v_lshlrev_b64 v[67:68], 4, v[71:72]
	v_add_co_u32_e64 v88, s[0:1], v31, v67
	v_mov_b32_e32 v74, v69
	v_addc_co_u32_e64 v89, s[0:1], v32, v68, s[0:1]
	v_lshlrev_b64 v[67:68], 4, v[73:74]
	v_add_co_u32_e64 v31, s[0:1], v31, v67
	v_addc_co_u32_e64 v32, s[0:1], v32, v68, s[0:1]
	global_load_dwordx4 v[202:205], v[0:1], off
	global_load_dwordx4 v[206:209], v[2:3], off
	;; [unrolled: 1-line block ×12, first 2 shown]
                                        ; kill: killed $vgpr0 killed $vgpr1
                                        ; kill: killed $vgpr15 killed $vgpr16
                                        ; kill: killed $vgpr2 killed $vgpr3
                                        ; kill: killed $vgpr17 killed $vgpr18
                                        ; kill: killed $vgpr5 killed $vgpr6
                                        ; kill: killed $vgpr19 killed $vgpr20
                                        ; kill: killed $vgpr7 killed $vgpr8
                                        ; kill: killed $vgpr21 killed $vgpr22
                                        ; kill: killed $vgpr9 killed $vgpr10
                                        ; kill: killed $vgpr23 killed $vgpr24
                                        ; kill: killed $vgpr11 killed $vgpr12
                                        ; kill: killed $vgpr13 killed $vgpr14
	global_load_dwordx4 v[194:197], v[25:26], off
	global_load_dwordx4 v[198:201], v[27:28], off
	global_load_dwordx4 v[140:143], v[29:30], off
	global_load_dwordx4 v[144:147], v[33:34], off
	global_load_dwordx4 v[156:159], v[35:36], off
	global_load_dwordx4 v[152:155], v[37:38], off
                                        ; kill: killed $vgpr27 killed $vgpr28
                                        ; kill: killed $vgpr37 killed $vgpr38
                                        ; kill: killed $vgpr29 killed $vgpr30
                                        ; kill: killed $vgpr33 killed $vgpr34
                                        ; kill: killed $vgpr25 killed $vgpr26
                                        ; kill: killed $vgpr35 killed $vgpr36
	global_load_dwordx4 v[164:167], v[39:40], off
	global_load_dwordx4 v[168:171], v[41:42], off
	global_load_dwordx4 v[160:163], v[43:44], off
                                        ; kill: killed $vgpr39 killed $vgpr40
                                        ; kill: killed $vgpr41 killed $vgpr42
                                        ; kill: killed $vgpr43 killed $vgpr44
	global_load_dwordx4 v[102:105], v[45:46], off
	global_load_dwordx4 v[110:113], v[47:48], off
	;; [unrolled: 1-line block ×11, first 2 shown]
	s_nop 0
	global_load_dwordx4 v[80:83], v[80:81], off
	s_nop 0
	global_load_dwordx4 v[88:91], v[88:89], off
	s_nop 0
	global_load_dwordx4 v[92:95], v[31:32], off
.LBB0_12:
	s_or_b64 exec, exec, s[6:7]
	s_waitcnt vmcnt(28)
	v_add_f64 v[5:6], v[210:211], v[206:207]
	v_add_f64 v[7:8], v[226:227], v[222:223]
	v_add_f64 v[9:10], v[224:225], -v[228:229]
	v_add_f64 v[11:12], v[220:221], -v[216:217]
	v_add_f64 v[13:14], v[218:219], v[214:215]
	s_mov_b32 s0, 0xaaaaaaab
	v_mul_hi_u32 v19, v4, s0
	v_add_f64 v[17:18], v[208:209], -v[212:213]
	s_mov_b32 s6, 0x37e14327
	v_add_f64 v[15:16], v[7:8], v[5:6]
	v_lshrrev_b32_e32 v27, 1, v19
	v_add_f64 v[19:20], v[11:12], v[9:10]
	v_add_f64 v[21:22], v[5:6], -v[13:14]
	v_add_f64 v[5:6], v[7:8], -v[5:6]
	;; [unrolled: 1-line block ×3, first 2 shown]
	s_mov_b32 s8, 0x36b3c0b5
	s_mov_b32 s7, 0x3fe948f6
	v_add_f64 v[15:16], v[13:14], v[15:16]
	v_add_f64 v[13:14], v[11:12], -v[9:10]
	v_add_f64 v[9:10], v[9:10], -v[17:18]
	s_mov_b32 s9, 0x3fac98ee
	v_add_f64 v[11:12], v[17:18], -v[11:12]
	v_add_f64 v[17:18], v[19:20], v[17:18]
	v_mul_f64 v[19:20], v[21:22], s[6:7]
	v_mul_f64 v[23:24], v[7:8], s[8:9]
	v_add_f64 v[21:22], v[202:203], v[15:16]
	s_mov_b32 s16, 0xe976ee23
	s_mov_b32 s14, 0x429ad128
	;; [unrolled: 1-line block ×6, first 2 shown]
	v_mul_f64 v[13:14], v[13:14], s[16:17]
	v_mul_f64 v[25:26], v[9:10], s[14:15]
	s_mov_b32 s19, 0xbff2aaaa
	s_mov_b32 s21, 0x3fe77f67
	;; [unrolled: 1-line block ×4, first 2 shown]
	v_fma_f64 v[15:16], v[15:16], s[18:19], v[21:22]
	v_fma_f64 v[7:8], v[7:8], s[8:9], v[19:20]
	v_fma_f64 v[23:24], v[5:6], s[20:21], -v[23:24]
	v_fma_f64 v[5:6], v[5:6], s[22:23], -v[19:20]
	s_mov_b32 s24, 0xb247c609
	s_mov_b32 s25, 0x3fd5d0dc
	;; [unrolled: 1-line block ×4, first 2 shown]
	v_fma_f64 v[19:20], v[11:12], s[24:25], v[13:14]
	v_fma_f64 v[9:10], v[9:10], s[14:15], -v[13:14]
	v_fma_f64 v[11:12], v[11:12], s[28:29], -v[25:26]
	v_add_f64 v[7:8], v[7:8], v[15:16]
	v_add_f64 v[13:14], v[23:24], v[15:16]
	;; [unrolled: 1-line block ×3, first 2 shown]
	s_waitcnt vmcnt(21)
	v_add_f64 v[15:16], v[198:199], v[190:191]
	v_add_f64 v[23:24], v[194:195], v[186:187]
	s_mov_b32 s26, 0x37c3f68c
	s_mov_b32 s27, 0x3fdc38aa
	v_fma_f64 v[19:20], v[17:18], s[26:27], v[19:20]
	v_fma_f64 v[11:12], v[17:18], s[26:27], v[11:12]
	;; [unrolled: 1-line block ×3, first 2 shown]
	v_lshl_add_u32 v17, v27, 1, v27
	v_sub_u32_e32 v4, v4, v17
	v_add_f64 v[17:18], v[182:183], v[178:179]
	v_add_f64 v[25:26], v[23:24], v[15:16]
	v_mul_u32_u24_e32 v67, 0x253, v4
	v_add_f64 v[33:34], v[188:189], -v[196:197]
	v_add_f64 v[29:30], v[11:12], v[5:6]
	v_add_f64 v[31:32], v[13:14], -v[9:10]
	v_add_f64 v[35:36], v[184:185], -v[180:181]
	v_add_f64 v[9:10], v[9:10], v[13:14]
	v_add_f64 v[13:14], v[192:193], -v[200:201]
	v_add_f64 v[25:26], v[17:18], v[25:26]
	v_add_f64 v[37:38], v[15:16], -v[17:18]
	v_add_f64 v[11:12], v[5:6], -v[11:12]
	;; [unrolled: 1-line block ×3, first 2 shown]
	v_add_f64 v[27:28], v[19:20], v[7:8]
	v_add_f64 v[6:7], v[7:8], -v[19:20]
	v_add_f64 v[17:18], v[35:36], v[33:34]
	v_add_f64 v[19:20], v[35:36], -v[33:34]
	v_add_f64 v[33:34], v[33:34], -v[13:14]
	v_add_f64 v[39:40], v[174:175], v[25:26]
	v_mul_f64 v[37:38], v[37:38], s[6:7]
	v_add_f64 v[15:16], v[23:24], -v[15:16]
	v_add_f64 v[23:24], v[13:14], -v[35:36]
	v_mul_f64 v[35:36], v[4:5], s[8:9]
	v_add_f64 v[13:14], v[17:18], v[13:14]
	v_mul_f64 v[17:18], v[19:20], s[16:17]
	v_mul_f64 v[19:20], v[33:34], s[14:15]
	v_fma_f64 v[25:26], v[25:26], s[18:19], v[39:40]
	v_fma_f64 v[4:5], v[4:5], s[8:9], v[37:38]
	s_waitcnt vmcnt(14)
	v_add_f64 v[41:42], v[160:161], v[144:145]
	v_add_f64 v[43:44], v[168:169], v[156:157]
	v_fma_f64 v[35:36], v[15:16], s[20:21], -v[35:36]
	v_fma_f64 v[15:16], v[15:16], s[22:23], -v[37:38]
	v_fma_f64 v[37:38], v[23:24], s[24:25], v[17:18]
	v_fma_f64 v[17:18], v[33:34], s[14:15], -v[17:18]
	v_fma_f64 v[19:20], v[23:24], s[28:29], -v[19:20]
	v_add_f64 v[4:5], v[4:5], v[25:26]
	v_add_f64 v[23:24], v[164:165], v[152:153]
	;; [unrolled: 1-line block ×5, first 2 shown]
	v_add_f64 v[25:26], v[158:159], -v[170:171]
	v_add_f64 v[45:46], v[166:167], -v[154:155]
	;; [unrolled: 1-line block ×3, first 2 shown]
	v_fma_f64 v[37:38], v[13:14], s[26:27], v[37:38]
	v_fma_f64 v[17:18], v[13:14], s[26:27], v[17:18]
	v_add_f64 v[33:34], v[23:24], v[33:34]
	v_add_f64 v[49:50], v[41:42], -v[23:24]
	v_add_f64 v[23:24], v[23:24], -v[43:44]
	v_fma_f64 v[13:14], v[13:14], s[26:27], v[19:20]
	v_add_f64 v[19:20], v[45:46], -v[25:26]
	v_add_f64 v[51:52], v[25:26], -v[47:48]
	;; [unrolled: 1-line block ×3, first 2 shown]
	v_add_f64 v[25:26], v[45:46], v[25:26]
	v_add_f64 v[43:44], v[140:141], v[33:34]
	v_mul_f64 v[49:50], v[49:50], s[6:7]
	v_mul_f64 v[53:54], v[23:24], s[8:9]
	v_add_f64 v[45:46], v[47:48], -v[45:46]
	v_mul_f64 v[19:20], v[19:20], s[16:17]
	v_mul_f64 v[55:56], v[51:52], s[14:15]
	v_add_f64 v[57:58], v[37:38], v[4:5]
	v_add_f64 v[25:26], v[25:26], v[47:48]
	v_fma_f64 v[33:34], v[33:34], s[18:19], v[43:44]
	v_fma_f64 v[23:24], v[23:24], s[8:9], v[49:50]
	v_fma_f64 v[47:48], v[41:42], s[20:21], -v[53:54]
	v_fma_f64 v[41:42], v[41:42], s[22:23], -v[49:50]
	v_fma_f64 v[49:50], v[45:46], s[24:25], v[19:20]
	v_fma_f64 v[19:20], v[51:52], s[14:15], -v[19:20]
	v_fma_f64 v[45:46], v[45:46], s[28:29], -v[55:56]
	s_waitcnt vmcnt(8)
	v_add_f64 v[51:52], v[130:131], v[126:127]
	v_add_f64 v[53:54], v[13:14], v[15:16]
	;; [unrolled: 1-line block ×5, first 2 shown]
	v_fma_f64 v[41:42], v[25:26], s[26:27], v[49:50]
	s_waitcnt vmcnt(7)
	v_add_f64 v[49:50], v[114:115], v[110:111]
	v_fma_f64 v[19:20], v[25:26], s[26:27], v[19:20]
	v_fma_f64 v[45:46], v[25:26], s[26:27], v[45:46]
	v_add_f64 v[13:14], v[15:16], -v[13:14]
	v_add_f64 v[15:16], v[4:5], -v[37:38]
	v_add_f64 v[4:5], v[122:123], v[118:119]
	v_add_f64 v[61:62], v[128:129], -v[132:133]
	v_add_f64 v[63:64], v[124:125], -v[120:121]
	v_add_f64 v[37:38], v[51:52], v[49:50]
	v_add_f64 v[59:60], v[47:48], -v[19:20]
	v_add_f64 v[19:20], v[19:20], v[47:48]
	v_add_f64 v[47:48], v[112:113], -v[116:117]
	v_add_f64 v[55:56], v[35:36], -v[17:18]
	v_add_f64 v[17:18], v[17:18], v[35:36]
	v_add_f64 v[25:26], v[41:42], v[23:24]
	;; [unrolled: 1-line block ×3, first 2 shown]
	v_add_f64 v[33:34], v[33:34], -v[45:46]
	v_add_f64 v[23:24], v[23:24], -v[41:42]
	v_add_f64 v[37:38], v[4:5], v[37:38]
	v_add_f64 v[41:42], v[49:50], -v[4:5]
	v_add_f64 v[4:5], v[4:5], -v[51:52]
	v_add_f64 v[45:46], v[63:64], v[61:62]
	v_add_f64 v[65:66], v[63:64], -v[61:62]
	v_add_f64 v[61:62], v[61:62], -v[47:48]
	;; [unrolled: 1-line block ×4, first 2 shown]
	v_add_f64 v[63:64], v[102:103], v[37:38]
	v_mul_f64 v[41:42], v[41:42], s[6:7]
	v_mul_f64 v[72:73], v[4:5], s[8:9]
	v_add_f64 v[45:46], v[45:46], v[47:48]
	v_mul_f64 v[47:48], v[65:66], s[16:17]
	v_mul_f64 v[65:66], v[61:62], s[14:15]
	s_waitcnt vmcnt(0)
	v_add_f64 v[74:75], v[92:93], v[68:69]
	v_add_f64 v[96:97], v[88:89], v[84:85]
	v_fma_f64 v[37:38], v[37:38], s[18:19], v[63:64]
	v_fma_f64 v[4:5], v[4:5], s[8:9], v[41:42]
	v_fma_f64 v[72:73], v[49:50], s[20:21], -v[72:73]
	v_fma_f64 v[41:42], v[49:50], s[22:23], -v[41:42]
	v_fma_f64 v[49:50], v[51:52], s[24:25], v[47:48]
	v_fma_f64 v[47:48], v[61:62], s[14:15], -v[47:48]
	v_add_f64 v[61:62], v[80:81], v[76:77]
	v_add_f64 v[98:99], v[96:97], v[74:75]
	v_fma_f64 v[51:52], v[51:52], s[28:29], -v[65:66]
	v_add_f64 v[65:66], v[86:87], -v[90:91]
	v_add_f64 v[100:101], v[82:83], -v[78:79]
	;; [unrolled: 1-line block ×3, first 2 shown]
	v_add_f64 v[4:5], v[4:5], v[37:38]
	v_add_f64 v[72:73], v[72:73], v[37:38]
	;; [unrolled: 1-line block ×4, first 2 shown]
	v_add_f64 v[98:99], v[74:75], -v[61:62]
	v_add_f64 v[61:62], v[61:62], -v[96:97]
	;; [unrolled: 1-line block ×5, first 2 shown]
	v_add_f64 v[65:66], v[100:101], v[65:66]
	v_add_f64 v[100:101], v[102:103], -v[100:101]
	v_add_f64 v[0:1], v[0:1], v[41:42]
	v_mul_f64 v[96:97], v[98:99], s[6:7]
	v_mul_f64 v[98:99], v[61:62], s[8:9]
	;; [unrolled: 1-line block ×4, first 2 shown]
	v_fma_f64 v[49:50], v[45:46], s[26:27], v[49:50]
	v_add_f64 v[65:66], v[65:66], v[102:103]
	v_fma_f64 v[47:48], v[45:46], s[26:27], v[47:48]
	v_fma_f64 v[41:42], v[41:42], s[18:19], v[0:1]
	;; [unrolled: 1-line block ×3, first 2 shown]
	v_fma_f64 v[98:99], v[74:75], s[20:21], -v[98:99]
	v_fma_f64 v[74:75], v[74:75], s[22:23], -v[96:97]
	v_fma_f64 v[96:97], v[100:101], s[24:25], v[106:107]
	v_fma_f64 v[100:101], v[100:101], s[28:29], -v[134:135]
	v_fma_f64 v[102:103], v[108:109], s[14:15], -v[106:107]
	v_fma_f64 v[45:46], v[45:46], s[26:27], v[51:52]
	v_add_f64 v[51:52], v[49:50], v[4:5]
	v_add_f64 v[61:62], v[61:62], v[41:42]
	;; [unrolled: 1-line block ×4, first 2 shown]
	v_fma_f64 v[74:75], v[65:66], s[26:27], v[96:97]
	v_fma_f64 v[96:97], v[65:66], s[26:27], v[100:101]
	;; [unrolled: 1-line block ×3, first 2 shown]
	v_add_f64 v[100:101], v[45:46], v[37:38]
	v_add_f64 v[37:38], v[37:38], -v[45:46]
	v_add_f64 v[45:46], v[4:5], -v[49:50]
	;; [unrolled: 1-line block ×3, first 2 shown]
	v_add_f64 v[47:48], v[47:48], v[72:73]
	v_add_f64 v[49:50], v[74:75], v[61:62]
	;; [unrolled: 1-line block ×3, first 2 shown]
	v_add_f64 v[106:107], v[98:99], -v[65:66]
	v_add_f64 v[65:66], v[65:66], v[98:99]
	v_add_f64 v[41:42], v[41:42], -v[96:97]
	v_add_f64 v[4:5], v[61:62], -v[74:75]
	v_lshlrev_b32_e32 v8, 3, v67
	v_add_u32_e32 v202, 0, v8
	v_mad_u32_u24 v203, v234, 56, v202
	v_mad_i32_i24 v239, v235, 56, v202
	v_mad_i32_i24 v240, v236, 56, v202
	;; [unrolled: 1-line block ×4, first 2 shown]
	s_load_dwordx2 s[4:5], s[4:5], 0x0
	ds_write2_b64 v203, v[21:22], v[27:28] offset1:1
	ds_write2_b64 v203, v[29:30], v[31:32] offset0:2 offset1:3
	ds_write2_b64 v203, v[9:10], v[11:12] offset0:4 offset1:5
	ds_write_b64 v203, v[6:7] offset:48
	ds_write2_b64 v239, v[39:40], v[57:58] offset1:1
	ds_write2_b64 v239, v[53:54], v[55:56] offset0:2 offset1:3
	ds_write2_b64 v239, v[17:18], v[13:14] offset0:4 offset1:5
	ds_write_b64 v239, v[15:16] offset:48
	;; [unrolled: 4-line block ×3, first 2 shown]
	buffer_store_dword v136, off, s[64:67], 0 offset:36 ; 4-byte Folded Spill
	ds_write2_b64 v241, v[63:64], v[51:52] offset1:1
	ds_write2_b64 v241, v[100:101], v[102:103] offset0:2 offset1:3
	ds_write2_b64 v241, v[47:48], v[37:38] offset0:4 offset1:5
	ds_write_b64 v241, v[45:46] offset:48
	buffer_store_dword v137, off, s[64:67], 0 offset:40 ; 4-byte Folded Spill
	ds_write2_b64 v248, v[0:1], v[49:50] offset1:1
	ds_write2_b64 v248, v[72:73], v[106:107] offset0:2 offset1:3
	ds_write2_b64 v248, v[65:66], v[41:42] offset0:4 offset1:5
	ds_write_b64 v248, v[4:5] offset:48
	v_lshlrev_b32_e32 v0, 3, v234
	v_add3_u32 v237, 0, v0, v8
	s_waitcnt lgkmcnt(0)
	; wave barrier
	s_waitcnt lgkmcnt(0)
	buffer_store_dword v8, off, s[64:67], 0 offset:44 ; 4-byte Folded Spill
	v_add_u32_e32 v250, 0x400, v237
	v_add_u32_e32 v249, 0x800, v237
	ds_read2_b64 v[172:175], v237 offset0:35 offset1:52
	ds_read2_b64 v[148:151], v237 offset0:70 offset1:87
	;; [unrolled: 1-line block ×14, first 2 shown]
	v_add_u32_e32 v1, v202, v0
	v_add_u32_e32 v251, 0x1000, v237
	v_lshl_add_u32 v0, v235, 3, v202
	ds_read2_b64 v[40:43], v251 offset0:13 offset1:30
	ds_read2_b64 v[36:39], v251 offset0:48 offset1:65
	ds_read_b64 v[244:245], v1
	ds_read_b64 v[242:243], v0
	v_cmp_eq_u32_e64 s[0:1], 0, v234
	buffer_store_dword v1, off, s[64:67], 0 ; 4-byte Folded Spill
	buffer_store_dword v0, off, s[64:67], 0 offset:32 ; 4-byte Folded Spill
                                        ; implicit-def: $vgpr254_vgpr255
                                        ; implicit-def: $vgpr10_vgpr11
                                        ; implicit-def: $vgpr14_vgpr15
                                        ; implicit-def: $vgpr18_vgpr19
                                        ; implicit-def: $vgpr22_vgpr23
                                        ; implicit-def: $vgpr26_vgpr27
                                        ; implicit-def: $vgpr30_vgpr31
                                        ; implicit-def: $vgpr34_vgpr35
	s_and_saveexec_b64 s[30:31], s[0:1]
	s_cbranch_execz .LBB0_14
; %bb.13:
	v_add_u32_e32 v0, 0x400, v202
	ds_read2_b64 v[4:7], v202 offset0:34 offset1:69
	ds_read2_b64 v[32:35], v202 offset0:104 offset1:139
	;; [unrolled: 1-line block ×4, first 2 shown]
	v_add_u32_e32 v0, 0x800, v202
	ds_read2_b64 v[20:23], v0 offset0:58 offset1:93
	ds_read2_b64 v[16:19], v0 offset0:128 offset1:163
	;; [unrolled: 1-line block ×3, first 2 shown]
	v_add_u32_e32 v0, 0x1000, v202
	ds_read2_b64 v[8:11], v0 offset0:12 offset1:47
	ds_read_b64 v[254:255], v202 offset:4752
.LBB0_14:
	s_or_b64 exec, exec, s[30:31]
	v_add_f64 v[0:1], v[212:213], v[208:209]
	v_add_f64 v[208:209], v[228:229], v[224:225]
	v_add_f64 v[212:213], v[222:223], -v[226:227]
	v_add_f64 v[216:217], v[220:221], v[216:217]
	v_add_f64 v[214:215], v[218:219], -v[214:215]
	v_add_f64 v[206:207], v[206:207], -v[210:211]
	v_add_f64 v[192:193], v[200:201], v[192:193]
	v_add_f64 v[188:189], v[196:197], v[188:189]
	;; [unrolled: 1-line block ×4, first 2 shown]
	v_add_f64 v[190:191], v[190:191], -v[198:199]
	v_add_f64 v[218:219], v[0:1], -v[216:217]
	;; [unrolled: 1-line block ×4, first 2 shown]
	v_add_f64 v[212:213], v[214:215], v[212:213]
	v_add_f64 v[214:215], v[206:207], -v[214:215]
	v_add_f64 v[0:1], v[208:209], -v[0:1]
	v_add_f64 v[210:211], v[216:217], v[210:211]
	v_add_f64 v[216:217], v[216:217], -v[208:209]
	v_mul_f64 v[218:219], v[218:219], s[6:7]
	v_mul_f64 v[220:221], v[220:221], s[16:17]
	;; [unrolled: 1-line block ×3, first 2 shown]
	v_add_f64 v[206:207], v[212:213], v[206:207]
	v_add_f64 v[184:185], v[188:189], v[192:193]
	v_add_f64 v[186:187], v[186:187], -v[194:195]
	v_add_f64 v[204:205], v[204:205], v[210:211]
	v_mul_f64 v[208:209], v[216:217], s[8:9]
	v_fma_f64 v[212:213], v[216:217], s[8:9], v[218:219]
	v_fma_f64 v[216:217], v[214:215], s[24:25], v[220:221]
	v_fma_f64 v[200:201], v[200:201], s[14:15], -v[220:221]
	v_fma_f64 v[196:197], v[214:215], s[28:29], -v[196:197]
	v_fma_f64 v[214:215], v[0:1], s[22:23], -v[218:219]
	v_add_f64 v[178:179], v[182:183], -v[178:179]
	v_fma_f64 v[210:211], v[210:211], s[18:19], v[204:205]
	v_fma_f64 v[0:1], v[0:1], s[20:21], -v[208:209]
	v_add_f64 v[182:183], v[192:193], -v[180:181]
	v_fma_f64 v[208:209], v[206:207], s[26:27], v[216:217]
	v_fma_f64 v[200:201], v[206:207], s[26:27], v[200:201]
	;; [unrolled: 1-line block ×3, first 2 shown]
	v_add_f64 v[184:185], v[180:181], v[184:185]
	v_add_f64 v[146:147], v[162:163], v[146:147]
	;; [unrolled: 1-line block ×5, first 2 shown]
	v_mul_f64 v[182:183], v[182:183], s[6:7]
	v_add_f64 v[158:159], v[170:171], v[158:159]
	v_add_f64 v[154:155], v[166:167], v[154:155]
	v_add_f64 v[156:157], v[156:157], -v[168:169]
	v_add_f64 v[152:153], v[164:165], -v[152:153]
	;; [unrolled: 1-line block ×3, first 2 shown]
	v_add_f64 v[210:211], v[200:201], v[0:1]
	v_add_f64 v[200:201], v[0:1], -v[200:201]
	v_add_f64 v[206:207], v[208:209], v[206:207]
	v_add_f64 v[0:1], v[180:181], -v[188:189]
	;; [unrolled: 2-line block ×3, first 2 shown]
	v_add_f64 v[186:187], v[186:187], -v[190:191]
	v_add_f64 v[188:189], v[188:189], -v[192:193]
	;; [unrolled: 1-line block ×3, first 2 shown]
	v_add_f64 v[166:167], v[158:159], v[146:147]
	v_add_f64 v[176:177], v[176:177], v[184:185]
	v_mul_f64 v[192:193], v[0:1], s[8:9]
	v_add_f64 v[180:181], v[180:181], v[190:191]
	v_mul_f64 v[190:191], v[208:209], s[16:17]
	v_mul_f64 v[208:209], v[186:187], s[14:15]
	v_fma_f64 v[0:1], v[0:1], s[8:9], v[182:183]
	v_fma_f64 v[170:171], v[188:189], s[22:23], -v[182:183]
	v_add_f64 v[144:145], v[144:145], -v[160:161]
	v_add_f64 v[166:167], v[154:155], v[166:167]
	v_add_f64 v[168:169], v[146:147], -v[154:155]
	v_add_f64 v[154:155], v[154:155], -v[158:159]
	v_fma_f64 v[182:183], v[178:179], s[24:25], v[190:191]
	v_fma_f64 v[186:187], v[186:187], s[14:15], -v[190:191]
	v_fma_f64 v[178:179], v[178:179], s[28:29], -v[208:209]
	v_fma_f64 v[184:185], v[184:185], s[18:19], v[176:177]
	v_fma_f64 v[162:163], v[188:189], s[20:21], -v[192:193]
	v_add_f64 v[146:147], v[158:159], -v[146:147]
	v_add_f64 v[142:143], v[142:143], v[166:167]
	v_mul_f64 v[158:159], v[168:169], s[6:7]
	v_fma_f64 v[160:161], v[180:181], s[26:27], v[182:183]
	v_fma_f64 v[164:165], v[180:181], s[26:27], v[186:187]
	;; [unrolled: 1-line block ×3, first 2 shown]
	v_add_f64 v[180:181], v[152:153], -v[156:157]
	v_add_f64 v[182:183], v[156:157], -v[144:145]
	v_add_f64 v[156:157], v[152:153], v[156:157]
	v_mul_f64 v[168:169], v[154:155], s[8:9]
	v_add_f64 v[152:153], v[144:145], -v[152:153]
	v_add_f64 v[0:1], v[0:1], v[184:185]
	v_add_f64 v[162:163], v[162:163], v[184:185]
	v_add_f64 v[170:171], v[170:171], v[184:185]
	v_mul_f64 v[180:181], v[180:181], s[16:17]
	v_mul_f64 v[184:185], v[182:183], s[14:15]
	v_add_f64 v[144:145], v[156:157], v[144:145]
	v_fma_f64 v[156:157], v[166:167], s[18:19], v[142:143]
	v_fma_f64 v[154:155], v[154:155], s[8:9], v[158:159]
	v_fma_f64 v[166:167], v[146:147], s[20:21], -v[168:169]
	v_fma_f64 v[146:147], v[146:147], s[22:23], -v[158:159]
	v_add_f64 v[112:113], v[116:117], v[112:113]
	v_fma_f64 v[158:159], v[152:153], s[24:25], v[180:181]
	v_add_f64 v[116:117], v[132:133], v[128:129]
	v_add_f64 v[186:187], v[0:1], -v[160:161]
	v_fma_f64 v[152:153], v[152:153], s[28:29], -v[184:185]
	v_add_f64 v[154:155], v[154:155], v[156:157]
	v_add_f64 v[166:167], v[166:167], v[156:157]
	;; [unrolled: 1-line block ×3, first 2 shown]
	v_add_f64 v[126:127], v[126:127], -v[130:131]
	v_fma_f64 v[156:157], v[144:145], s[26:27], v[158:159]
	v_add_f64 v[158:159], v[160:161], v[0:1]
	v_add_f64 v[0:1], v[124:125], v[120:121]
	;; [unrolled: 1-line block ×3, first 2 shown]
	v_fma_f64 v[152:153], v[144:145], s[26:27], v[152:153]
	v_add_f64 v[118:119], v[122:123], -v[118:119]
	v_add_f64 v[110:111], v[110:111], -v[114:115]
	v_add_f64 v[184:185], v[164:165], v[162:163]
	v_add_f64 v[132:133], v[162:163], -v[164:165]
	v_add_f64 v[70:71], v[94:95], v[70:71]
	;; [unrolled: 2-line block ×3, first 2 shown]
	v_add_f64 v[0:1], v[0:1], -v[116:117]
	v_add_f64 v[162:163], v[146:147], -v[152:153]
	v_add_f64 v[114:115], v[152:153], v[146:147]
	v_add_f64 v[146:147], v[118:119], v[126:127]
	v_add_f64 v[152:153], v[118:119], -v[126:127]
	v_add_f64 v[112:113], v[116:117], -v[112:113]
	;; [unrolled: 1-line block ×3, first 2 shown]
	v_add_f64 v[104:105], v[104:105], v[120:121]
	v_mul_f64 v[118:119], v[130:131], s[6:7]
	v_mul_f64 v[130:131], v[0:1], s[8:9]
	v_add_f64 v[86:87], v[90:91], v[86:87]
	v_add_f64 v[126:127], v[126:127], -v[110:111]
	v_add_f64 v[110:111], v[146:147], v[110:111]
	v_mul_f64 v[146:147], v[152:153], s[16:17]
	v_add_f64 v[78:79], v[82:83], v[78:79]
	v_fma_f64 v[90:91], v[120:121], s[18:19], v[104:105]
	v_fma_f64 v[0:1], v[0:1], s[8:9], v[118:119]
	v_fma_f64 v[94:95], v[112:113], s[20:21], -v[130:131]
	v_fma_f64 v[112:113], v[112:113], s[22:23], -v[118:119]
	v_add_f64 v[82:83], v[86:87], v[70:71]
	v_add_f64 v[84:85], v[84:85], -v[88:89]
	v_add_f64 v[76:77], v[80:81], -v[76:77]
	;; [unrolled: 1-line block ×3, first 2 shown]
	v_fma_f64 v[118:119], v[116:117], s[24:25], v[146:147]
	v_add_f64 v[0:1], v[0:1], v[90:91]
	v_add_f64 v[80:81], v[94:95], v[90:91]
	;; [unrolled: 1-line block ×4, first 2 shown]
	v_add_f64 v[90:91], v[70:71], -v[78:79]
	v_add_f64 v[78:79], v[78:79], -v[86:87]
	;; [unrolled: 1-line block ×4, first 2 shown]
	v_fma_f64 v[92:93], v[110:111], s[26:27], v[118:119]
	v_add_f64 v[70:71], v[86:87], -v[70:71]
	v_add_f64 v[84:85], v[76:77], v[84:85]
	v_add_f64 v[2:3], v[2:3], v[82:83]
	v_mul_f64 v[86:87], v[90:91], s[6:7]
	v_mul_f64 v[90:91], v[78:79], s[8:9]
	v_add_f64 v[76:77], v[68:69], -v[76:77]
	v_mul_f64 v[94:95], v[94:95], s[16:17]
	v_mul_f64 v[118:119], v[112:113], s[14:15]
	v_mul_f64 v[152:153], v[126:127], s[14:15]
	v_fma_f64 v[180:181], v[182:183], s[14:15], -v[180:181]
	v_add_f64 v[68:69], v[84:85], v[68:69]
	v_fma_f64 v[82:83], v[82:83], s[18:19], v[2:3]
	v_fma_f64 v[78:79], v[78:79], s[8:9], v[86:87]
	v_fma_f64 v[84:85], v[70:71], s[20:21], -v[90:91]
	v_fma_f64 v[70:71], v[70:71], s[22:23], -v[86:87]
	v_fma_f64 v[86:87], v[76:77], s[24:25], v[94:95]
	v_fma_f64 v[76:77], v[76:77], s[28:29], -v[118:119]
	v_fma_f64 v[90:91], v[112:113], s[14:15], -v[94:95]
	;; [unrolled: 1-line block ×4, first 2 shown]
	v_fma_f64 v[128:129], v[144:145], s[26:27], v[180:181]
	v_add_f64 v[78:79], v[78:79], v[82:83]
	v_add_f64 v[84:85], v[84:85], v[82:83]
	;; [unrolled: 1-line block ×3, first 2 shown]
	v_fma_f64 v[82:83], v[68:69], s[26:27], v[86:87]
	v_fma_f64 v[76:77], v[68:69], s[26:27], v[76:77]
	;; [unrolled: 1-line block ×5, first 2 shown]
	v_add_f64 v[198:199], v[212:213], -v[196:197]
	v_add_f64 v[196:197], v[196:197], v[212:213]
	v_add_f64 v[168:169], v[170:171], -v[178:179]
	v_add_f64 v[144:145], v[178:179], v[170:171]
	;; [unrolled: 2-line block ×4, first 2 shown]
	v_add_f64 v[116:117], v[68:69], v[84:85]
	buffer_store_dword v236, off, s[64:67], 0 offset:28 ; 4-byte Folded Spill
	v_add_f64 v[110:111], v[0:1], -v[92:93]
	v_add_f64 v[86:87], v[88:89], -v[94:95]
	v_add_f64 v[90:91], v[120:121], v[80:81]
	v_add_f64 v[80:81], v[80:81], -v[120:121]
	v_add_f64 v[88:89], v[94:95], v[88:89]
	v_add_f64 v[92:93], v[92:93], v[0:1]
	v_add_f64 v[94:95], v[78:79], -v[82:83]
	v_add_f64 v[112:113], v[70:71], -v[76:77]
	;; [unrolled: 1-line block ×3, first 2 shown]
	v_add_f64 v[70:71], v[76:77], v[70:71]
	v_add_f64 v[0:1], v[82:83], v[78:79]
	s_waitcnt lgkmcnt(0)
	; wave barrier
	s_waitcnt lgkmcnt(0)
	ds_write2_b64 v203, v[204:205], v[194:195] offset1:1
	ds_write2_b64 v203, v[198:199], v[210:211] offset0:2 offset1:3
	ds_write2_b64 v203, v[200:201], v[196:197] offset0:4 offset1:5
	ds_write_b64 v203, v[206:207] offset:48
	ds_write2_b64 v239, v[176:177], v[186:187] offset1:1
	ds_write2_b64 v239, v[168:169], v[184:185] offset0:2 offset1:3
	ds_write2_b64 v239, v[132:133], v[144:145] offset0:4 offset1:5
	ds_write_b64 v239, v[158:159] offset:48
	ds_write2_b64 v240, v[142:143], v[160:161] offset1:1
	ds_write2_b64 v240, v[162:163], v[124:125] offset0:2 offset1:3
	ds_write2_b64 v240, v[122:123], v[114:115] offset0:4 offset1:5
	ds_write_b64 v240, v[128:129] offset:48
	ds_write2_b64 v241, v[104:105], v[110:111] offset1:1
	ds_write2_b64 v241, v[86:87], v[90:91] offset0:2 offset1:3
	ds_write2_b64 v241, v[80:81], v[88:89] offset0:4 offset1:5
	ds_write_b64 v241, v[92:93] offset:48
	ds_write2_b64 v248, v[2:3], v[94:95] offset1:1
	ds_write2_b64 v248, v[112:113], v[116:117] offset0:2 offset1:3
	ds_write2_b64 v248, v[68:69], v[70:71] offset0:4 offset1:5
	ds_write_b64 v248, v[0:1] offset:48
	s_waitcnt lgkmcnt(0)
	; wave barrier
	s_waitcnt lgkmcnt(0)
	ds_read2_b64 v[192:195], v237 offset0:35 offset1:52
	ds_read2_b64 v[188:191], v237 offset0:70 offset1:87
	;; [unrolled: 1-line block ×16, first 2 shown]
	buffer_load_dword v2, off, s[64:67], 0  ; 4-byte Folded Reload
                                        ; implicit-def: $vgpr248_vgpr249
                                        ; implicit-def: $vgpr70_vgpr71
                                        ; implicit-def: $vgpr78_vgpr79
                                        ; implicit-def: $vgpr82_vgpr83
                                        ; implicit-def: $vgpr86_vgpr87
                                        ; implicit-def: $vgpr90_vgpr91
                                        ; implicit-def: $vgpr94_vgpr95
                                        ; implicit-def: $vgpr112_vgpr113
	s_waitcnt vmcnt(0)
	ds_read_b64 v[212:213], v2
	v_lshl_add_u32 v2, v235, 3, v202
	ds_read_b64 v[196:197], v2
	s_and_saveexec_b64 s[6:7], s[0:1]
	s_cbranch_execz .LBB0_16
; %bb.15:
	v_add_u32_e32 v68, 0x400, v202
	ds_read2_b64 v[0:3], v202 offset0:34 offset1:69
	ds_read2_b64 v[110:113], v202 offset0:104 offset1:139
	;; [unrolled: 1-line block ×4, first 2 shown]
	v_add_u32_e32 v68, 0x800, v202
	ds_read2_b64 v[84:87], v68 offset0:58 offset1:93
	ds_read2_b64 v[80:83], v68 offset0:128 offset1:163
	ds_read2_b64 v[76:79], v68 offset0:198 offset1:233
	v_add_u32_e32 v68, 0x1000, v202
	ds_read2_b64 v[68:71], v68 offset0:12 offset1:47
	ds_read_b64 v[248:249], v202 offset:4752
.LBB0_16:
	s_or_b64 exec, exec, s[6:7]
	v_mov_b32_e32 v104, 37
	v_mul_lo_u16_sdwa v105, v234, v104 dst_sel:DWORD dst_unused:UNUSED_PAD src0_sel:BYTE_0 src1_sel:DWORD
	v_sub_u16_sdwa v146, v234, v105 dst_sel:DWORD dst_unused:UNUSED_PAD src0_sel:DWORD src1_sel:BYTE_1
	v_lshrrev_b16_e32 v146, 1, v146
	v_and_b32_e32 v146, 0x7f, v146
	v_add_u16_sdwa v105, v146, v105 dst_sel:DWORD dst_unused:UNUSED_PAD src0_sel:DWORD src1_sel:BYTE_1
	v_lshrrev_b16_e32 v105, 2, v105
	buffer_store_dword v105, off, s[64:67], 0 offset:120 ; 4-byte Folded Spill
	v_mul_lo_u16_e32 v105, 7, v105
	v_sub_u16_e32 v146, v234, v105
	v_mov_b32_e32 v105, 8
	buffer_store_dword v146, off, s[64:67], 0 offset:128 ; 4-byte Folded Spill
	v_lshlrev_b32_sdwa v226, v105, v146 dst_sel:DWORD dst_unused:UNUSED_PAD src0_sel:DWORD src1_sel:BYTE_0
	v_mul_lo_u16_sdwa v146, v235, v104 dst_sel:DWORD dst_unused:UNUSED_PAD src0_sel:BYTE_0 src1_sel:DWORD
	v_sub_u16_sdwa v147, v235, v146 dst_sel:DWORD dst_unused:UNUSED_PAD src0_sel:DWORD src1_sel:BYTE_1
	v_lshrrev_b16_e32 v147, 1, v147
	v_and_b32_e32 v147, 0x7f, v147
	global_load_dwordx4 v[198:201], v226, s[12:13]
	v_add_u16_sdwa v146, v147, v146 dst_sel:DWORD dst_unused:UNUSED_PAD src0_sel:DWORD src1_sel:BYTE_1
	v_lshrrev_b16_e32 v146, 2, v146
	buffer_store_dword v146, off, s[64:67], 0 offset:308 ; 4-byte Folded Spill
	v_mul_lo_u16_e32 v146, 7, v146
	v_sub_u16_e32 v146, v235, v146
	buffer_store_dword v235, off, s[64:67], 0 offset:224 ; 4-byte Folded Spill
	buffer_store_dword v146, off, s[64:67], 0 offset:312 ; 4-byte Folded Spill
	v_lshlrev_b32_sdwa v229, v105, v146 dst_sel:DWORD dst_unused:UNUSED_PAD src0_sel:DWORD src1_sel:BYTE_0
	global_load_dwordx4 v[202:205], v229, s[12:13]
	global_load_dwordx4 v[206:209], v226, s[12:13] offset:16
	global_load_dwordx4 v[214:217], v229, s[12:13] offset:16
	;; [unrolled: 1-line block ×6, first 2 shown]
	s_mov_b32 s36, 0x5d8e7cdc
	s_mov_b32 s46, 0x2a9d6da3
	;; [unrolled: 1-line block ×48, first 2 shown]
	s_movk_i32 s33, 0x3b8
	s_waitcnt vmcnt(10) lgkmcnt(14)
	v_mul_f64 v[146:147], v[192:193], v[200:201]
	v_mul_f64 v[200:201], v[172:173], v[200:201]
	s_waitcnt vmcnt(6)
	v_mul_f64 v[227:228], v[194:195], v[204:205]
	v_mul_f64 v[204:205], v[174:175], v[204:205]
	v_fma_f64 v[210:211], v[172:173], v[198:199], -v[146:147]
	v_fma_f64 v[246:247], v[192:193], v[198:199], v[200:201]
	global_load_dwordx4 v[198:201], v229, s[12:13] offset:64
	v_fma_f64 v[146:147], v[174:175], v[202:203], -v[227:228]
	v_fma_f64 v[204:205], v[194:195], v[202:203], v[204:205]
	s_waitcnt vmcnt(6)
	v_mul_f64 v[202:203], v[188:189], v[208:209]
	s_waitcnt vmcnt(5)
	v_mul_f64 v[227:228], v[190:191], v[216:217]
	v_mul_f64 v[208:209], v[148:149], v[208:209]
	;; [unrolled: 1-line block ×3, first 2 shown]
	buffer_store_dword v146, off, s[64:67], 0 offset:332 ; 4-byte Folded Spill
	s_nop 0
	buffer_store_dword v147, off, s[64:67], 0 offset:336 ; 4-byte Folded Spill
	global_load_dwordx4 v[172:175], v226, s[12:13] offset:64
	v_fma_f64 v[192:193], v[148:149], v[206:207], -v[202:203]
	v_fma_f64 v[148:149], v[150:151], v[214:215], -v[227:228]
	v_fma_f64 v[146:147], v[188:189], v[206:207], v[208:209]
	global_load_dwordx4 v[206:209], v226, s[12:13] offset:80
	s_nop 0
	buffer_store_dword v148, off, s[64:67], 0 offset:324 ; 4-byte Folded Spill
	s_nop 0
	buffer_store_dword v149, off, s[64:67], 0 offset:328 ; 4-byte Folded Spill
	s_waitcnt vmcnt(10)
	v_mul_f64 v[202:203], v[184:185], v[220:221]
	s_waitcnt vmcnt(9)
	v_mul_f64 v[150:151], v[186:187], v[224:225]
	v_fma_f64 v[148:149], v[190:191], v[214:215], v[216:217]
	v_mul_f64 v[224:225], v[140:141], v[224:225]
	v_mul_f64 v[227:228], v[138:139], v[220:221]
	buffer_store_dword v148, off, s[64:67], 0 offset:20 ; 4-byte Folded Spill
	s_nop 0
	buffer_store_dword v149, off, s[64:67], 0 offset:24 ; 4-byte Folded Spill
	v_fma_f64 v[214:215], v[138:139], v[218:219], -v[202:203]
	v_fma_f64 v[138:139], v[140:141], v[222:223], -v[150:151]
	v_fma_f64 v[186:187], v[186:187], v[222:223], v[224:225]
	global_load_dwordx4 v[188:191], v229, s[12:13] offset:80
	s_nop 0
	buffer_store_dword v138, off, s[64:67], 0 offset:316 ; 4-byte Folded Spill
	s_nop 0
	buffer_store_dword v139, off, s[64:67], 0 offset:320 ; 4-byte Folded Spill
	global_load_dwordx4 v[138:141], v226, s[12:13] offset:96
	s_nop 0
	buffer_store_dword v186, off, s[64:67], 0 offset:12 ; 4-byte Folded Spill
	s_nop 0
	buffer_store_dword v187, off, s[64:67], 0 offset:16 ; 4-byte Folded Spill
	global_load_dwordx4 v[222:225], v229, s[12:13] offset:96
	v_fma_f64 v[148:149], v[184:185], v[218:219], v[227:228]
	s_waitcnt vmcnt(17)
	v_mul_f64 v[184:185], v[180:181], v[240:241]
	v_mul_f64 v[150:151], v[134:135], v[240:241]
	s_waitcnt vmcnt(16)
	v_mul_f64 v[227:228], v[182:183], v[252:253]
	v_fma_f64 v[202:203], v[134:135], v[238:239], -v[184:185]
	global_load_dwordx4 v[184:187], v226, s[12:13] offset:112
	v_fma_f64 v[194:195], v[180:181], v[238:239], v[150:151]
	v_mul_f64 v[150:151], v[136:137], v[252:253]
	v_fma_f64 v[216:217], v[136:137], v[250:251], -v[227:228]
	global_load_dwordx4 v[134:137], v229, s[12:13] offset:112
	v_fma_f64 v[238:239], v[182:183], v[250:251], v[150:151]
	s_waitcnt vmcnt(17) lgkmcnt(13)
	v_mul_f64 v[180:181], v[178:179], v[200:201]
	v_mul_f64 v[200:201], v[108:109], v[200:201]
	v_fma_f64 v[182:183], v[178:179], v[198:199], v[200:201]
	s_waitcnt vmcnt(14)
	v_mul_f64 v[150:151], v[176:177], v[174:175]
	v_mul_f64 v[174:175], v[106:107], v[174:175]
	s_waitcnt vmcnt(13)
	v_mul_f64 v[178:179], v[100:101], v[208:209]
	v_fma_f64 v[218:219], v[106:107], v[172:173], -v[150:151]
	v_fma_f64 v[106:107], v[176:177], v[172:173], v[174:175]
	v_fma_f64 v[176:177], v[108:109], v[198:199], -v[180:181]
	global_load_dwordx4 v[250:253], v226, s[12:13] offset:128
	global_load_dwordx4 v[172:175], v229, s[12:13] offset:128
	s_waitcnt lgkmcnt(12)
	v_mul_f64 v[150:151], v[168:169], v[208:209]
	v_fma_f64 v[227:228], v[168:169], v[206:207], v[178:179]
	global_load_dwordx4 v[198:201], v226, s[12:13] offset:144
	v_fma_f64 v[208:209], v[100:101], v[206:207], -v[150:151]
	s_waitcnt vmcnt(11)
	v_mul_f64 v[180:181], v[170:171], v[190:191]
	v_mul_f64 v[190:191], v[102:103], v[190:191]
	v_fma_f64 v[168:169], v[102:103], v[188:189], -v[180:181]
	s_waitcnt vmcnt(8) lgkmcnt(11)
	v_mul_f64 v[102:103], v[164:165], v[140:141]
	v_fma_f64 v[170:171], v[170:171], v[188:189], v[190:191]
	global_load_dwordx4 v[188:191], v229, s[12:13] offset:144
	s_waitcnt vmcnt(6)
	v_mul_f64 v[150:151], v[166:167], v[224:225]
	v_mul_f64 v[140:141], v[96:97], v[140:141]
	;; [unrolled: 1-line block ×3, first 2 shown]
	v_fma_f64 v[178:179], v[96:97], v[138:139], -v[102:103]
	v_fma_f64 v[220:221], v[98:99], v[222:223], -v[150:151]
	global_load_dwordx4 v[96:99], v226, s[12:13] offset:160
	v_fma_f64 v[100:101], v[166:167], v[222:223], v[180:181]
	v_fma_f64 v[102:103], v[164:165], v[138:139], v[140:141]
	s_waitcnt vmcnt(6) lgkmcnt(10)
	v_mul_f64 v[138:139], v[160:161], v[186:187]
	v_mul_f64 v[140:141], v[72:73], v[186:187]
	buffer_store_dword v100, off, s[64:67], 0 offset:4 ; 4-byte Folded Spill
	s_nop 0
	buffer_store_dword v101, off, s[64:67], 0 offset:8 ; 4-byte Folded Spill
	global_load_dwordx4 v[222:225], v226, s[12:13] offset:176
	v_fma_f64 v[164:165], v[72:73], v[184:185], -v[138:139]
	v_fma_f64 v[240:241], v[160:161], v[184:185], v[140:141]
	global_load_dwordx4 v[184:187], v226, s[12:13] offset:192
	s_waitcnt vmcnt(9)
	v_mul_f64 v[150:151], v[162:163], v[136:137]
	v_mul_f64 v[136:137], v[74:75], v[136:137]
	v_fma_f64 v[100:101], v[74:75], v[134:135], -v[150:151]
	global_load_dwordx4 v[72:75], v229, s[12:13] offset:160
	v_fma_f64 v[206:207], v[162:163], v[134:135], v[136:137]
	s_waitcnt vmcnt(9) lgkmcnt(9)
	v_mul_f64 v[134:135], v[156:157], v[252:253]
	s_waitcnt vmcnt(8)
	v_mul_f64 v[138:139], v[158:159], v[174:175]
	v_mul_f64 v[136:137], v[64:65], v[252:253]
	v_fma_f64 v[180:181], v[64:65], v[250:251], -v[134:135]
	v_mul_f64 v[64:65], v[66:67], v[174:175]
	v_fma_f64 v[174:175], v[66:67], v[172:173], -v[138:139]
	s_waitcnt vmcnt(7) lgkmcnt(8)
	v_mul_f64 v[66:67], v[152:153], v[200:201]
	v_mul_f64 v[138:139], v[60:61], v[200:201]
	v_fma_f64 v[166:167], v[156:157], v[250:251], v[136:137]
	global_load_dwordx4 v[250:253], v229, s[12:13] offset:176
	global_load_dwordx4 v[134:137], v226, s[12:13] offset:208
	v_fma_f64 v[108:109], v[158:159], v[172:173], v[64:65]
	v_fma_f64 v[156:157], v[60:61], v[198:199], -v[66:67]
	v_fma_f64 v[200:201], v[152:153], v[198:199], v[138:139]
	global_load_dwordx4 v[64:67], v229, s[12:13] offset:192
	s_waitcnt vmcnt(9)
	v_mul_f64 v[140:141], v[154:155], v[190:191]
	v_mul_f64 v[60:61], v[62:63], v[190:191]
	v_fma_f64 v[62:63], v[62:63], v[188:189], -v[140:141]
	s_waitcnt vmcnt(8) lgkmcnt(7)
	v_mul_f64 v[138:139], v[142:143], v[98:99]
	v_mul_f64 v[140:141], v[56:57], v[98:99]
	v_fma_f64 v[98:99], v[154:155], v[188:189], v[60:61]
	v_fma_f64 v[158:159], v[56:57], v[96:97], -v[138:139]
	v_fma_f64 v[154:155], v[142:143], v[96:97], v[140:141]
	buffer_load_dword v96, off, s[64:67], 0 offset:28 ; 4-byte Folded Reload
	s_waitcnt vmcnt(6) lgkmcnt(6)
	v_mul_f64 v[60:61], v[130:131], v[224:225]
	v_mul_f64 v[150:151], v[52:53], v[224:225]
	s_waitcnt vmcnt(5) lgkmcnt(5)
	v_mul_f64 v[56:57], v[126:127], v[186:187]
	v_mul_f64 v[138:139], v[48:49], v[186:187]
	global_load_dwordx4 v[186:189], v229, s[12:13] offset:208
	v_fma_f64 v[172:173], v[52:53], v[222:223], -v[60:61]
	v_fma_f64 v[235:236], v[130:131], v[222:223], v[150:151]
	global_load_dwordx4 v[222:225], v226, s[12:13] offset:224
	v_fma_f64 v[152:153], v[48:49], v[184:185], -v[56:57]
	s_waitcnt vmcnt(6)
	v_mul_f64 v[52:53], v[144:145], v[74:75]
	v_mul_f64 v[48:49], v[58:59], v[74:75]
	v_fma_f64 v[184:185], v[126:127], v[184:185], v[138:139]
	global_load_dwordx4 v[138:141], v229, s[12:13] offset:240
	v_fma_f64 v[56:57], v[58:59], v[72:73], -v[52:53]
	global_load_dwordx4 v[58:61], v229, s[12:13] offset:224
	v_fma_f64 v[126:127], v[144:145], v[72:73], v[48:49]
	global_load_dwordx4 v[72:75], v226, s[12:13] offset:240
	s_waitcnt vmcnt(8)
	v_mul_f64 v[52:53], v[54:55], v[252:253]
	v_mul_f64 v[48:49], v[132:133], v[252:253]
	v_fma_f64 v[130:131], v[132:133], v[250:251], v[52:53]
	v_fma_f64 v[54:55], v[54:55], v[250:251], -v[48:49]
	s_waitcnt vmcnt(6)
	v_mul_f64 v[52:53], v[128:129], v[66:67]
	v_mul_f64 v[66:67], v[50:51], v[66:67]
	s_waitcnt lgkmcnt(4)
	v_mul_f64 v[48:49], v[122:123], v[136:137]
	v_fma_f64 v[128:129], v[128:129], v[64:65], v[66:67]
	v_fma_f64 v[144:145], v[44:45], v[134:135], -v[48:49]
	s_waitcnt vmcnt(5)
	v_mul_lo_u16_sdwa v104, v96, v104 dst_sel:DWORD dst_unused:UNUSED_PAD src0_sel:BYTE_0 src1_sel:DWORD
	v_sub_u16_sdwa v132, v96, v104 dst_sel:DWORD dst_unused:UNUSED_PAD src0_sel:DWORD src1_sel:BYTE_1
	v_lshrrev_b16_e32 v132, 1, v132
	v_and_b32_e32 v132, 0x7f, v132
	v_add_u16_sdwa v104, v132, v104 dst_sel:DWORD dst_unused:UNUSED_PAD src0_sel:DWORD src1_sel:BYTE_1
	v_lshrrev_b16_e32 v104, 2, v104
	v_mul_lo_u16_e32 v104, 7, v104
	v_sub_u16_e32 v190, v96, v104
	v_lshlrev_b32_sdwa v150, v105, v190 dst_sel:DWORD dst_unused:UNUSED_PAD src0_sel:DWORD src1_sel:BYTE_0
	global_load_dwordx4 v[250:253], v150, s[12:13] offset:16
	v_fma_f64 v[132:133], v[50:51], v[64:65], -v[52:53]
	global_load_dwordx4 v[64:67], v150, s[12:13] offset:32
	v_mul_f64 v[50:51], v[44:45], v[136:137]
	s_waitcnt vmcnt(6)
	v_mul_f64 v[52:53], v[124:125], v[188:189]
	v_mul_f64 v[104:105], v[46:47], v[188:189]
	s_waitcnt vmcnt(5) lgkmcnt(3)
	v_mul_f64 v[48:49], v[118:119], v[224:225]
	v_fma_f64 v[96:97], v[122:123], v[134:135], v[50:51]
	global_load_dwordx4 v[134:137], v150, s[12:13] offset:48
	v_fma_f64 v[198:199], v[46:47], v[186:187], -v[52:53]
	global_load_dwordx4 v[44:47], v150, s[12:13] offset:64
	v_mul_f64 v[52:53], v[40:41], v[224:225]
	v_fma_f64 v[160:161], v[124:125], v[186:187], v[104:105]
	global_load_dwordx4 v[122:125], v150, s[12:13] offset:80
	v_fma_f64 v[50:51], v[40:41], v[222:223], -v[48:49]
	s_waitcnt vmcnt(6)
	v_mul_f64 v[104:105], v[120:121], v[60:61]
	v_fma_f64 v[188:189], v[118:119], v[222:223], v[52:53]
	global_load_dwordx4 v[222:225], v150, s[12:13] offset:96
	v_fma_f64 v[162:163], v[42:43], v[58:59], -v[104:105]
	v_mul_f64 v[42:43], v[42:43], v[60:61]
	v_fma_f64 v[40:41], v[120:121], v[58:59], v[42:43]
	global_load_dwordx4 v[118:121], v150, s[12:13] offset:112
	s_waitcnt vmcnt(7) lgkmcnt(2)
	v_mul_f64 v[42:43], v[114:115], v[74:75]
	v_mul_f64 v[48:49], v[36:37], v[74:75]
	v_fma_f64 v[52:53], v[36:37], v[72:73], -v[42:43]
	v_mul_f64 v[36:37], v[116:117], v[140:141]
	v_mul_f64 v[42:43], v[38:39], v[140:141]
	v_fma_f64 v[58:59], v[114:115], v[72:73], v[48:49]
	v_add_f64 v[140:141], v[100:101], v[174:175]
	v_fma_f64 v[36:37], v[38:39], v[138:139], -v[36:37]
	v_fma_f64 v[38:39], v[116:117], v[138:139], v[42:43]
	global_load_dwordx4 v[72:75], v150, s[12:13]
	global_load_dwordx4 v[114:117], v150, s[12:13] offset:128
	s_waitcnt vmcnt(8)
	v_mul_f64 v[42:43], v[110:111], v[252:253]
	v_mul_f64 v[48:49], v[32:33], v[252:253]
	s_waitcnt vmcnt(7)
	v_mul_f64 v[60:61], v[112:113], v[66:67]
	v_fma_f64 v[32:33], v[32:33], v[250:251], -v[42:43]
	buffer_store_dword v32, off, s[64:67], 0 offset:104 ; 4-byte Folded Spill
	s_nop 0
	buffer_store_dword v33, off, s[64:67], 0 offset:108 ; 4-byte Folded Spill
	v_fma_f64 v[32:33], v[110:111], v[250:251], v[48:49]
	buffer_store_dword v32, off, s[64:67], 0 offset:112 ; 4-byte Folded Spill
	s_nop 0
	buffer_store_dword v33, off, s[64:67], 0 offset:116 ; 4-byte Folded Spill
	v_mul_f64 v[32:33], v[34:35], v[66:67]
	s_waitcnt vmcnt(10)
	v_mul_f64 v[42:43], v[92:93], v[136:137]
	v_fma_f64 v[34:35], v[34:35], v[64:65], -v[60:61]
	v_mul_f64 v[48:49], v[28:29], v[136:137]
	s_waitcnt vmcnt(9)
	v_mul_f64 v[60:61], v[94:95], v[46:47]
	buffer_store_dword v34, off, s[64:67], 0 offset:80 ; 4-byte Folded Spill
	s_nop 0
	buffer_store_dword v35, off, s[64:67], 0 offset:84 ; 4-byte Folded Spill
	v_fma_f64 v[32:33], v[112:113], v[64:65], v[32:33]
	v_fma_f64 v[28:29], v[28:29], v[134:135], -v[42:43]
	buffer_store_dword v32, off, s[64:67], 0 offset:88 ; 4-byte Folded Spill
	s_nop 0
	buffer_store_dword v33, off, s[64:67], 0 offset:92 ; 4-byte Folded Spill
	global_load_dwordx4 v[32:35], v150, s[12:13] offset:144
	s_nop 0
	buffer_store_dword v28, off, s[64:67], 0 offset:72 ; 4-byte Folded Spill
	s_nop 0
	buffer_store_dword v29, off, s[64:67], 0 offset:76 ; 4-byte Folded Spill
	v_fma_f64 v[110:111], v[92:93], v[134:135], v[48:49]
	s_waitcnt vmcnt(15)
	v_mul_f64 v[48:49], v[88:89], v[124:125]
	v_fma_f64 v[28:29], v[30:31], v[44:45], -v[60:61]
	s_waitcnt vmcnt(14)
	v_mul_f64 v[60:61], v[90:91], v[224:225]
	v_mul_f64 v[66:67], v[26:27], v[224:225]
	v_mul_f64 v[46:47], v[30:31], v[46:47]
	v_mul_f64 v[64:65], v[24:25], v[124:125]
	buffer_store_dword v28, off, s[64:67], 0 offset:64 ; 4-byte Folded Spill
	s_nop 0
	buffer_store_dword v29, off, s[64:67], 0 offset:68 ; 4-byte Folded Spill
	v_fma_f64 v[24:25], v[24:25], v[122:123], -v[48:49]
	v_fma_f64 v[250:251], v[26:27], v[222:223], -v[60:61]
	v_fma_f64 v[60:61], v[90:91], v[222:223], v[66:67]
	global_load_dwordx4 v[28:31], v150, s[12:13] offset:160
	v_fma_f64 v[104:105], v[94:95], v[44:45], v[46:47]
	global_load_dwordx4 v[42:45], v150, s[12:13] offset:176
	s_nop 0
	buffer_store_dword v24, off, s[64:67], 0 offset:48 ; 4-byte Folded Spill
	s_nop 0
	buffer_store_dword v25, off, s[64:67], 0 offset:52 ; 4-byte Folded Spill
	global_load_dwordx4 v[46:49], v150, s[12:13] offset:192
	s_nop 0
	global_load_dwordx4 v[24:27], v150, s[12:13] offset:208
	s_nop 0
	buffer_store_dword v60, off, s[64:67], 0 offset:252 ; 4-byte Folded Spill
	s_nop 0
	buffer_store_dword v61, off, s[64:67], 0 offset:256 ; 4-byte Folded Spill
	s_waitcnt vmcnt(23)
	v_mul_f64 v[60:61], v[84:85], v[120:121]
	v_fma_f64 v[252:253], v[88:89], v[122:123], v[64:65]
	v_mul_f64 v[88:89], v[20:21], v[120:121]
	global_load_dwordx4 v[64:67], v150, s[12:13] offset:224
	v_fma_f64 v[20:21], v[20:21], v[118:119], -v[60:61]
	buffer_store_dword v20, off, s[64:67], 0 offset:244 ; 4-byte Folded Spill
	s_nop 0
	buffer_store_dword v21, off, s[64:67], 0 offset:248 ; 4-byte Folded Spill
	s_waitcnt vmcnt(24)
	v_mul_f64 v[20:21], v[86:87], v[116:117]
	global_load_dwordx4 v[134:137], v150, s[12:13] offset:240
	v_fma_f64 v[222:223], v[84:85], v[118:119], v[88:89]
	v_fma_f64 v[20:21], v[22:23], v[114:115], -v[20:21]
	buffer_store_dword v20, off, s[64:67], 0 offset:300 ; 4-byte Folded Spill
	s_nop 0
	buffer_store_dword v21, off, s[64:67], 0 offset:304 ; 4-byte Folded Spill
	v_mul_f64 v[20:21], v[22:23], v[116:117]
	v_mul_f64 v[22:23], v[2:3], v[74:75]
	buffer_store_dword v0, off, s[64:67], 0 offset:340 ; 4-byte Folded Spill
	s_nop 0
	buffer_store_dword v1, off, s[64:67], 0 offset:344 ; 4-byte Folded Spill
	buffer_store_dword v2, off, s[64:67], 0 offset:348 ; 4-byte Folded Spill
	;; [unrolled: 1-line block ×3, first 2 shown]
	v_mov_b32_e32 v0, v146
	v_mov_b32_e32 v1, v147
	v_fma_f64 v[186:187], v[86:87], v[114:115], v[20:21]
	v_mul_f64 v[20:21], v[6:7], v[74:75]
	v_fma_f64 v[142:143], v[6:7], v[72:73], -v[22:23]
	s_waitcnt vmcnt(22)
	v_mul_f64 v[60:61], v[80:81], v[34:35]
	v_mul_f64 v[34:35], v[16:17], v[34:35]
	v_fma_f64 v[16:17], v[16:17], v[32:33], -v[60:61]
	buffer_store_dword v16, off, s[64:67], 0 offset:56 ; 4-byte Folded Spill
	s_nop 0
	buffer_store_dword v17, off, s[64:67], 0 offset:60 ; 4-byte Folded Spill
	s_waitcnt vmcnt(19)
	v_mul_f64 v[6:7], v[18:19], v[30:31]
	s_waitcnt vmcnt(18)
	v_mul_f64 v[16:17], v[76:77], v[44:45]
	v_fma_f64 v[86:87], v[80:81], v[32:33], v[34:35]
	v_mov_b32_e32 v80, 3
	s_waitcnt vmcnt(15)
	v_mul_f64 v[22:23], v[78:79], v[48:49]
	v_fma_f64 v[84:85], v[82:83], v[28:29], v[6:7]
	s_waitcnt vmcnt(14) lgkmcnt(1)
	v_mul_f64 v[6:7], v[68:69], v[26:27]
	v_fma_f64 v[138:139], v[14:15], v[46:47], -v[22:23]
	v_fma_f64 v[112:113], v[8:9], v[24:25], -v[6:7]
	s_waitcnt vmcnt(8) lgkmcnt(0)
	v_mul_f64 v[6:7], v[248:249], v[136:137]
	v_fma_f64 v[122:123], v[2:3], v[72:73], v[20:21]
	v_mul_f64 v[20:21], v[12:13], v[44:45]
	v_fma_f64 v[12:13], v[12:13], v[42:43], -v[16:17]
	buffer_store_dword v12, off, s[64:67], 0 offset:96 ; 4-byte Folded Spill
	s_nop 0
	buffer_store_dword v13, off, s[64:67], 0 offset:100 ; 4-byte Folded Spill
	buffer_store_dword v246, off, s[64:67], 0 offset:268 ; 4-byte Folded Spill
	s_nop 0
	buffer_store_dword v247, off, s[64:67], 0 offset:272 ; 4-byte Folded Spill
	;; [unrolled: 3-line block ×3, first 2 shown]
	v_mul_f64 v[2:3], v[82:83], v[30:31]
	v_mul_f64 v[12:13], v[70:71], v[66:67]
	v_fma_f64 v[88:89], v[76:77], v[42:43], v[20:21]
	buffer_store_dword v148, off, s[64:67], 0 offset:260 ; 4-byte Folded Spill
	s_nop 0
	buffer_store_dword v149, off, s[64:67], 0 offset:264 ; 4-byte Folded Spill
	buffer_store_dword v96, off, s[64:67], 0 offset:284 ; 4-byte Folded Spill
	s_nop 0
	buffer_store_dword v97, off, s[64:67], 0 offset:288 ; 4-byte Folded Spill
	;; [unrolled: 3-line block ×7, first 2 shown]
	v_fma_f64 v[224:225], v[18:19], v[28:29], -v[2:3]
	v_mul_f64 v[2:3], v[14:15], v[48:49]
	v_mul_f64 v[18:19], v[8:9], v[26:27]
	;; [unrolled: 1-line block ×4, first 2 shown]
	v_fma_f64 v[150:151], v[10:11], v[64:65], -v[12:13]
	v_add_f64 v[10:11], v[210:211], v[52:53]
	v_add_f64 v[66:67], v[164:165], v[180:181]
	v_add_f64 v[136:137], v[206:207], -v[108:109]
	v_fma_f64 v[114:115], v[78:79], v[46:47], v[2:3]
	v_fma_f64 v[116:117], v[68:69], v[24:25], v[18:19]
	;; [unrolled: 1-line block ×3, first 2 shown]
	v_fma_f64 v[70:71], v[254:255], v[134:135], -v[6:7]
	v_add_f64 v[2:3], v[246:247], -v[58:59]
	v_add_f64 v[34:35], v[146:147], -v[188:189]
	v_fma_f64 v[246:247], v[248:249], v[134:135], v[8:9]
	v_mov_b32_e32 v146, v198
	v_mov_b32_e32 v147, v199
	v_mul_f64 v[12:13], v[2:3], s[36:37]
	v_mul_f64 v[6:7], v[2:3], s[46:47]
	;; [unrolled: 1-line block ×8, first 2 shown]
	v_fma_f64 v[8:9], v[10:11], s[24:25], -v[12:13]
	v_fma_f64 v[12:13], v[10:11], s[24:25], v[12:13]
	v_fma_f64 v[16:17], v[10:11], s[18:19], -v[6:7]
	v_fma_f64 v[6:7], v[10:11], s[18:19], v[6:7]
	;; [unrolled: 2-line block ×8, first 2 shown]
	v_add_f64 v[10:11], v[192:193], v[50:51]
	v_mul_f64 v[46:47], v[34:35], s[46:47]
	v_add_f64 v[12:13], v[244:245], v[12:13]
	v_add_f64 v[8:9], v[244:245], v[8:9]
	v_add_f64 v[6:7], v[244:245], v[6:7]
	v_add_f64 v[16:17], v[244:245], v[16:17]
	v_add_f64 v[14:15], v[244:245], v[14:15]
	v_add_f64 v[20:21], v[244:245], v[20:21]
	v_add_f64 v[18:19], v[244:245], v[18:19]
	v_fma_f64 v[48:49], v[10:11], s[18:19], -v[46:47]
	v_fma_f64 v[46:47], v[10:11], s[18:19], v[46:47]
	v_add_f64 v[24:25], v[244:245], v[24:25]
	v_add_f64 v[22:23], v[244:245], v[22:23]
	v_add_f64 v[28:29], v[244:245], v[28:29]
	v_add_f64 v[26:27], v[244:245], v[26:27]
	v_add_f64 v[30:31], v[244:245], v[30:31]
	v_add_f64 v[42:43], v[244:245], v[42:43]
	v_add_f64 v[8:9], v[48:49], v[8:9]
	v_add_f64 v[12:13], v[46:47], v[12:13]
	v_mul_f64 v[46:47], v[34:35], s[40:41]
	v_add_f64 v[32:33], v[244:245], v[32:33]
	v_add_f64 v[2:3], v[244:245], v[2:3]
	v_fma_f64 v[48:49], v[10:11], s[6:7], -v[46:47]
	v_fma_f64 v[46:47], v[10:11], s[6:7], v[46:47]
	v_add_f64 v[16:17], v[48:49], v[16:17]
	v_add_f64 v[6:7], v[46:47], v[6:7]
	v_mul_f64 v[46:47], v[34:35], s[20:21]
	v_fma_f64 v[48:49], v[10:11], s[22:23], -v[46:47]
	v_fma_f64 v[46:47], v[10:11], s[22:23], v[46:47]
	v_add_f64 v[20:21], v[48:49], v[20:21]
	v_add_f64 v[14:15], v[46:47], v[14:15]
	v_mul_f64 v[46:47], v[34:35], s[30:31]
	;; [unrolled: 5-line block ×5, first 2 shown]
	v_mul_f64 v[34:35], v[34:35], s[42:43]
	v_fma_f64 v[48:49], v[10:11], s[16:17], -v[46:47]
	v_fma_f64 v[46:47], v[10:11], s[16:17], v[46:47]
	v_add_f64 v[42:43], v[48:49], v[42:43]
	v_fma_f64 v[48:49], v[10:11], s[24:25], -v[34:35]
	v_fma_f64 v[10:11], v[10:11], s[24:25], v[34:35]
	v_add_f64 v[34:35], v[244:245], v[44:45]
	v_add_f64 v[44:45], v[148:149], -v[96:97]
	v_add_f64 v[32:33], v[46:47], v[32:33]
	v_add_f64 v[2:3], v[10:11], v[2:3]
	;; [unrolled: 1-line block ×3, first 2 shown]
	v_mul_f64 v[46:47], v[44:45], s[52:53]
	v_add_f64 v[34:35], v[48:49], v[34:35]
	v_fma_f64 v[48:49], v[10:11], s[16:17], -v[46:47]
	v_fma_f64 v[46:47], v[10:11], s[16:17], v[46:47]
	v_add_f64 v[8:9], v[48:49], v[8:9]
	v_add_f64 v[12:13], v[46:47], v[12:13]
	v_mul_f64 v[46:47], v[44:45], s[20:21]
	v_fma_f64 v[48:49], v[10:11], s[22:23], -v[46:47]
	v_fma_f64 v[46:47], v[10:11], s[22:23], v[46:47]
	v_add_f64 v[16:17], v[48:49], v[16:17]
	v_add_f64 v[6:7], v[46:47], v[6:7]
	v_mul_f64 v[46:47], v[44:45], s[58:59]
	;; [unrolled: 5-line block ×6, first 2 shown]
	v_mul_f64 v[44:45], v[44:45], s[26:27]
	v_fma_f64 v[48:49], v[10:11], s[6:7], -v[46:47]
	v_fma_f64 v[46:47], v[10:11], s[6:7], v[46:47]
	v_add_f64 v[42:43], v[48:49], v[42:43]
	v_fma_f64 v[48:49], v[10:11], s[28:29], -v[44:45]
	v_fma_f64 v[10:11], v[10:11], s[28:29], v[44:45]
	v_add_f64 v[44:45], v[194:195], -v[184:185]
	v_mov_b32_e32 v195, v153
	v_mov_b32_e32 v194, v152
	v_add_f64 v[32:33], v[46:47], v[32:33]
	v_mov_b32_e32 v184, v192
	v_mov_b32_e32 v185, v193
	v_add_f64 v[34:35], v[48:49], v[34:35]
	v_add_f64 v[2:3], v[10:11], v[2:3]
	;; [unrolled: 1-line block ×3, first 2 shown]
	v_mul_f64 v[46:47], v[44:45], s[40:41]
	v_mov_b32_e32 v193, v161
	v_mov_b32_e32 v192, v160
	v_fma_f64 v[48:49], v[10:11], s[6:7], -v[46:47]
	v_fma_f64 v[46:47], v[10:11], s[6:7], v[46:47]
	v_add_f64 v[8:9], v[48:49], v[8:9]
	v_add_f64 v[12:13], v[46:47], v[12:13]
	v_mul_f64 v[46:47], v[44:45], s[30:31]
	v_fma_f64 v[48:49], v[10:11], s[38:39], -v[46:47]
	v_fma_f64 v[46:47], v[10:11], s[38:39], v[46:47]
	v_add_f64 v[16:17], v[48:49], v[16:17]
	v_add_f64 v[6:7], v[46:47], v[6:7]
	v_mul_f64 v[46:47], v[44:45], s[54:55]
	;; [unrolled: 5-line block ×6, first 2 shown]
	v_mul_f64 v[44:45], v[44:45], s[44:45]
	v_fma_f64 v[48:49], v[10:11], s[22:23], -v[46:47]
	v_fma_f64 v[46:47], v[10:11], s[22:23], v[46:47]
	v_add_f64 v[42:43], v[48:49], v[42:43]
	v_fma_f64 v[48:49], v[10:11], s[18:19], -v[44:45]
	v_fma_f64 v[10:11], v[10:11], s[18:19], v[44:45]
	v_add_f64 v[44:45], v[106:107], -v[235:236]
	v_add_f64 v[32:33], v[46:47], v[32:33]
	v_mov_b32_e32 v106, v208
	v_mov_b32_e32 v107, v209
	v_add_f64 v[34:35], v[48:49], v[34:35]
	v_add_f64 v[2:3], v[10:11], v[2:3]
	;; [unrolled: 1-line block ×3, first 2 shown]
	v_mul_f64 v[46:47], v[44:45], s[8:9]
	v_fma_f64 v[48:49], v[10:11], s[14:15], -v[46:47]
	v_fma_f64 v[46:47], v[10:11], s[14:15], v[46:47]
	v_add_f64 v[8:9], v[48:49], v[8:9]
	v_add_f64 v[12:13], v[46:47], v[12:13]
	v_mul_f64 v[46:47], v[44:45], s[56:57]
	v_fma_f64 v[48:49], v[10:11], s[28:29], -v[46:47]
	v_fma_f64 v[46:47], v[10:11], s[28:29], v[46:47]
	v_add_f64 v[16:17], v[48:49], v[16:17]
	v_add_f64 v[6:7], v[46:47], v[6:7]
	;; [unrolled: 5-line block ×6, first 2 shown]
	v_mul_f64 v[46:47], v[44:45], s[36:37]
	v_mul_f64 v[44:45], v[44:45], s[20:21]
	v_fma_f64 v[48:49], v[10:11], s[24:25], -v[46:47]
	v_fma_f64 v[46:47], v[10:11], s[24:25], v[46:47]
	v_add_f64 v[42:43], v[48:49], v[42:43]
	v_fma_f64 v[48:49], v[10:11], s[22:23], -v[44:45]
	v_fma_f64 v[10:11], v[10:11], s[22:23], v[44:45]
	v_add_f64 v[44:45], v[227:228], -v[154:155]
	v_add_f64 v[32:33], v[46:47], v[32:33]
	v_mov_b32_e32 v227, v201
	v_mov_b32_e32 v226, v200
	;; [unrolled: 1-line block ×4, first 2 shown]
	v_add_f64 v[34:35], v[48:49], v[34:35]
	v_add_f64 v[2:3], v[10:11], v[2:3]
	;; [unrolled: 1-line block ×3, first 2 shown]
	v_mul_f64 v[46:47], v[44:45], s[20:21]
	v_mov_b32_e32 v209, v163
	v_mov_b32_e32 v208, v162
	;; [unrolled: 1-line block ×7, first 2 shown]
	v_fma_f64 v[48:49], v[10:11], s[22:23], -v[46:47]
	v_fma_f64 v[46:47], v[10:11], s[22:23], v[46:47]
	v_mov_b32_e32 v214, v210
	v_mov_b32_e32 v229, v155
	;; [unrolled: 1-line block ×5, first 2 shown]
	v_add_f64 v[8:9], v[48:49], v[8:9]
	v_add_f64 v[12:13], v[46:47], v[12:13]
	v_mul_f64 v[46:47], v[44:45], s[54:55]
	v_fma_f64 v[48:49], v[10:11], s[14:15], -v[46:47]
	v_fma_f64 v[46:47], v[10:11], s[14:15], v[46:47]
	v_add_f64 v[16:17], v[48:49], v[16:17]
	v_add_f64 v[6:7], v[46:47], v[6:7]
	v_mul_f64 v[46:47], v[44:45], s[36:37]
	v_fma_f64 v[48:49], v[10:11], s[24:25], -v[46:47]
	v_fma_f64 v[46:47], v[10:11], s[24:25], v[46:47]
	;; [unrolled: 5-line block ×5, first 2 shown]
	v_add_f64 v[30:31], v[48:49], v[30:31]
	v_add_f64 v[26:27], v[46:47], v[26:27]
	v_mul_f64 v[46:47], v[44:45], s[30:31]
	v_mul_f64 v[44:45], v[44:45], s[34:35]
	v_fma_f64 v[48:49], v[10:11], s[38:39], -v[46:47]
	v_fma_f64 v[46:47], v[10:11], s[38:39], v[46:47]
	v_add_f64 v[42:43], v[48:49], v[42:43]
	v_fma_f64 v[48:49], v[10:11], s[16:17], -v[44:45]
	v_fma_f64 v[10:11], v[10:11], s[16:17], v[44:45]
	v_add_f64 v[44:45], v[102:103], -v[226:227]
	v_add_f64 v[32:33], v[46:47], v[32:33]
	v_mov_b32_e32 v103, v101
	v_mov_b32_e32 v102, v100
	v_add_f64 v[34:35], v[48:49], v[34:35]
	v_add_f64 v[2:3], v[10:11], v[2:3]
	;; [unrolled: 1-line block ×3, first 2 shown]
	v_mul_f64 v[46:47], v[44:45], s[26:27]
	buffer_store_dword v178, off, s[64:67], 0 offset:192 ; 4-byte Folded Spill
	s_nop 0
	buffer_store_dword v179, off, s[64:67], 0 offset:196 ; 4-byte Folded Spill
	buffer_store_dword v164, off, s[64:67], 0 offset:184 ; 4-byte Folded Spill
	s_nop 0
	buffer_store_dword v165, off, s[64:67], 0 offset:188 ; 4-byte Folded Spill
	buffer_store_dword v144, off, s[64:67], 0 offset:276 ; 4-byte Folded Spill
	s_nop 0
	buffer_store_dword v145, off, s[64:67], 0 offset:280 ; 4-byte Folded Spill
	buffer_store_dword v204, off, s[64:67], 0 offset:176 ; 4-byte Folded Spill
	s_nop 0
	buffer_store_dword v205, off, s[64:67], 0 offset:180 ; 4-byte Folded Spill
	s_waitcnt lgkmcnt(0)
	; wave barrier
	v_fma_f64 v[48:49], v[10:11], s[28:29], -v[46:47]
	v_fma_f64 v[46:47], v[10:11], s[28:29], v[46:47]
	v_add_f64 v[8:9], v[48:49], v[8:9]
	v_add_f64 v[12:13], v[46:47], v[12:13]
	v_mul_f64 v[46:47], v[44:45], s[34:35]
	v_fma_f64 v[48:49], v[10:11], s[16:17], -v[46:47]
	v_fma_f64 v[46:47], v[10:11], s[16:17], v[46:47]
	v_add_f64 v[16:17], v[48:49], v[16:17]
	v_add_f64 v[6:7], v[46:47], v[6:7]
	v_mul_f64 v[46:47], v[44:45], s[40:41]
	;; [unrolled: 5-line block ×6, first 2 shown]
	v_fma_f64 v[28:29], v[10:11], s[18:19], -v[18:19]
	v_fma_f64 v[18:19], v[10:11], s[18:19], v[18:19]
	v_add_f64 v[42:43], v[28:29], v[42:43]
	v_mul_f64 v[28:29], v[44:45], s[8:9]
	v_add_f64 v[44:45], v[162:163], -v[166:167]
	v_add_f64 v[32:33], v[18:19], v[32:33]
	v_fma_f64 v[30:31], v[10:11], s[14:15], -v[28:29]
	v_fma_f64 v[10:11], v[10:11], s[14:15], v[28:29]
	v_add_f64 v[34:35], v[30:31], v[34:35]
	v_add_f64 v[64:65], v[10:11], v[2:3]
	v_mul_f64 v[2:3], v[44:45], s[30:31]
	v_fma_f64 v[10:11], v[66:67], s[38:39], -v[2:3]
	v_fma_f64 v[2:3], v[66:67], s[38:39], v[2:3]
	v_add_f64 v[68:69], v[10:11], v[8:9]
	v_mul_f64 v[8:9], v[44:45], s[42:43]
	v_add_f64 v[2:3], v[2:3], v[12:13]
	v_fma_f64 v[10:11], v[66:67], s[24:25], -v[8:9]
	v_fma_f64 v[8:9], v[66:67], s[24:25], v[8:9]
	v_add_f64 v[28:29], v[10:11], v[16:17]
	v_add_f64 v[6:7], v[8:9], v[6:7]
	v_mul_f64 v[8:9], v[44:45], s[26:27]
	v_fma_f64 v[10:11], v[66:67], s[28:29], -v[8:9]
	v_fma_f64 v[8:9], v[66:67], s[28:29], v[8:9]
	v_add_f64 v[30:31], v[10:11], v[20:21]
	v_mul_f64 v[10:11], v[44:45], s[44:45]
	v_add_f64 v[8:9], v[8:9], v[14:15]
	v_mul_f64 v[20:21], v[44:45], s[8:9]
	v_fma_f64 v[12:13], v[66:67], s[18:19], -v[10:11]
	v_fma_f64 v[10:11], v[66:67], s[18:19], v[10:11]
	v_add_f64 v[18:19], v[12:13], v[24:25]
	v_mul_f64 v[12:13], v[44:45], s[20:21]
	v_add_f64 v[10:11], v[10:11], v[46:47]
	buffer_load_dword v46, off, s[64:67], 0 offset:120 ; 4-byte Folded Reload
	buffer_load_dword v47, off, s[64:67], 0 offset:128 ; 4-byte Folded Reload
	;; [unrolled: 1-line block ×3, first 2 shown]
	v_fma_f64 v[14:15], v[66:67], s[22:23], -v[12:13]
	v_fma_f64 v[12:13], v[66:67], s[22:23], v[12:13]
	v_add_f64 v[24:25], v[14:15], v[48:49]
	v_mul_f64 v[14:15], v[44:45], s[34:35]
	v_add_f64 v[12:13], v[12:13], v[22:23]
	v_fma_f64 v[22:23], v[66:67], s[14:15], -v[20:21]
	v_fma_f64 v[20:21], v[66:67], s[14:15], v[20:21]
	v_fma_f64 v[16:17], v[66:67], s[16:17], -v[14:15]
	v_fma_f64 v[14:15], v[66:67], s[16:17], v[14:15]
	v_add_f64 v[22:23], v[22:23], v[42:43]
	v_mul_f64 v[42:43], v[44:45], s[48:49]
	v_add_f64 v[20:21], v[20:21], v[32:33]
	v_add_f64 v[16:17], v[16:17], v[60:61]
	;; [unrolled: 1-line block ×4, first 2 shown]
	v_fma_f64 v[32:33], v[66:67], s[6:7], -v[42:43]
	v_fma_f64 v[42:43], v[66:67], s[6:7], v[42:43]
	v_add_f64 v[26:27], v[26:27], v[184:185]
	v_add_f64 v[32:33], v[32:33], v[34:35]
	;; [unrolled: 1-line block ×7, first 2 shown]
	s_waitcnt vmcnt(2)
	v_mad_u32_u24 v46, v46, s33, 0
	v_add_f64 v[26:27], v[26:27], v[178:179]
	v_mov_b32_e32 v179, v157
	v_mov_b32_e32 v178, v156
	s_waitcnt vmcnt(1)
	v_lshlrev_b32_sdwa v47, v80, v47 dst_sel:DWORD dst_unused:UNUSED_PAD src0_sel:DWORD src1_sel:BYTE_0
	s_waitcnt vmcnt(0)
	v_add3_u32 v60, v46, v47, v83
	v_add_f64 v[26:27], v[26:27], v[164:165]
	v_mov_b32_e32 v164, v180
	v_mov_b32_e32 v165, v181
	v_add_f64 v[26:27], v[26:27], v[164:165]
	v_add_f64 v[26:27], v[26:27], v[178:179]
	;; [unrolled: 1-line block ×8, first 2 shown]
	v_add_f64 v[26:27], v[204:205], -v[38:39]
	ds_write2_b64 v60, v[44:45], v[68:69] offset1:7
	buffer_load_dword v148, off, s[64:67], 0 offset:332 ; 4-byte Folded Reload
	buffer_load_dword v149, off, s[64:67], 0 offset:336 ; 4-byte Folded Reload
	v_mul_f64 v[46:47], v[26:27], s[36:37]
	v_mul_f64 v[34:35], v[26:27], s[46:47]
	;; [unrolled: 1-line block ×3, first 2 shown]
	ds_write2_b64 v60, v[18:19], v[24:25] offset0:28 offset1:35
	v_mul_f64 v[18:19], v[26:27], s[40:41]
	ds_write2_b64 v60, v[16:17], v[22:23] offset0:42 offset1:49
	v_mul_f64 v[16:17], v[26:27], s[8:9]
	v_mul_f64 v[22:23], v[26:27], s[20:21]
	ds_write2_b64 v60, v[32:33], v[42:43] offset0:56 offset1:63
	v_mul_f64 v[42:43], v[26:27], s[26:27]
	v_mul_f64 v[26:27], v[26:27], s[30:31]
	ds_write2_b64 v60, v[28:29], v[30:31] offset0:14 offset1:21
	ds_write2_b64 v60, v[20:21], v[14:15] offset0:70 offset1:77
	;; [unrolled: 1-line block ×3, first 2 shown]
	s_waitcnt vmcnt(0)
	v_add_f64 v[44:45], v[148:149], v[36:37]
	v_fma_f64 v[28:29], v[44:45], s[24:25], -v[46:47]
	v_fma_f64 v[30:31], v[44:45], s[24:25], v[46:47]
	v_fma_f64 v[46:47], v[44:45], s[18:19], -v[34:35]
	v_fma_f64 v[24:25], v[44:45], s[18:19], v[34:35]
	;; [unrolled: 2-line block ×8, first 2 shown]
	buffer_load_dword v44, off, s[64:67], 0 offset:20 ; 4-byte Folded Reload
	buffer_load_dword v45, off, s[64:67], 0 offset:24 ; 4-byte Folded Reload
	;; [unrolled: 1-line block ×4, first 2 shown]
	v_add_f64 v[30:31], v[242:243], v[30:31]
	v_add_f64 v[28:29], v[242:243], v[28:29]
	;; [unrolled: 1-line block ×16, first 2 shown]
	s_waitcnt vmcnt(2)
	v_add_f64 v[44:45], v[44:45], -v[40:41]
	s_waitcnt vmcnt(0)
	v_add_f64 v[64:65], v[254:255], v[208:209]
	v_mul_f64 v[66:67], v[44:45], s[46:47]
	v_fma_f64 v[68:69], v[64:65], s[18:19], -v[66:67]
	v_fma_f64 v[66:67], v[64:65], s[18:19], v[66:67]
	v_add_f64 v[28:29], v[68:69], v[28:29]
	v_add_f64 v[30:31], v[66:67], v[30:31]
	v_mul_f64 v[66:67], v[44:45], s[40:41]
	v_fma_f64 v[68:69], v[64:65], s[6:7], -v[66:67]
	v_fma_f64 v[66:67], v[64:65], s[6:7], v[66:67]
	v_add_f64 v[46:47], v[68:69], v[46:47]
	v_add_f64 v[24:25], v[66:67], v[24:25]
	v_mul_f64 v[66:67], v[44:45], s[20:21]
	v_fma_f64 v[68:69], v[64:65], s[22:23], -v[66:67]
	v_fma_f64 v[66:67], v[64:65], s[22:23], v[66:67]
	v_add_f64 v[34:35], v[68:69], v[34:35]
	v_add_f64 v[48:49], v[66:67], v[48:49]
	v_mul_f64 v[66:67], v[44:45], s[30:31]
	v_fma_f64 v[68:69], v[64:65], s[38:39], -v[66:67]
	v_fma_f64 v[66:67], v[64:65], s[38:39], v[66:67]
	v_add_f64 v[32:33], v[68:69], v[32:33]
	v_add_f64 v[18:19], v[66:67], v[18:19]
	v_mul_f64 v[66:67], v[44:45], s[56:57]
	v_fma_f64 v[68:69], v[64:65], s[28:29], -v[66:67]
	v_fma_f64 v[66:67], v[64:65], s[28:29], v[66:67]
	v_add_f64 v[14:15], v[68:69], v[14:15]
	v_add_f64 v[16:17], v[66:67], v[16:17]
	v_mul_f64 v[66:67], v[44:45], s[54:55]
	v_fma_f64 v[68:69], v[64:65], s[14:15], -v[66:67]
	v_fma_f64 v[66:67], v[64:65], s[14:15], v[66:67]
	v_add_f64 v[20:21], v[68:69], v[20:21]
	v_add_f64 v[22:23], v[66:67], v[22:23]
	v_mul_f64 v[66:67], v[44:45], s[34:35]
	v_mul_f64 v[44:45], v[44:45], s[42:43]
	v_fma_f64 v[68:69], v[64:65], s[16:17], -v[66:67]
	v_fma_f64 v[66:67], v[64:65], s[16:17], v[66:67]
	v_add_f64 v[10:11], v[68:69], v[10:11]
	v_add_f64 v[12:13], v[66:67], v[12:13]
	v_fma_f64 v[66:67], v[64:65], s[24:25], -v[44:45]
	v_fma_f64 v[44:45], v[64:65], s[24:25], v[44:45]
	v_add_f64 v[42:43], v[66:67], v[42:43]
	v_add_f64 v[26:27], v[44:45], v[26:27]
	buffer_load_dword v44, off, s[64:67], 0 offset:12 ; 4-byte Folded Reload
	buffer_load_dword v45, off, s[64:67], 0 offset:16 ; 4-byte Folded Reload
	;; [unrolled: 1-line block ×4, first 2 shown]
	s_nop 0
	buffer_store_dword v238, off, s[64:67], 0 offset:168 ; 4-byte Folded Spill
	s_nop 0
	buffer_store_dword v239, off, s[64:67], 0 offset:172 ; 4-byte Folded Spill
	buffer_store_dword v182, off, s[64:67], 0 offset:152 ; 4-byte Folded Spill
	s_nop 0
	buffer_store_dword v183, off, s[64:67], 0 offset:156 ; 4-byte Folded Spill
	;; [unrolled: 3-line block ×3, first 2 shown]
	s_waitcnt vmcnt(8)
	v_add_f64 v[44:45], v[44:45], -v[192:193]
	s_waitcnt vmcnt(6)
	v_add_f64 v[64:65], v[81:82], v[146:147]
	v_mul_f64 v[66:67], v[44:45], s[52:53]
	v_mul_f64 v[72:73], v[44:45], s[40:41]
	v_fma_f64 v[68:69], v[64:65], s[16:17], -v[66:67]
	v_fma_f64 v[66:67], v[64:65], s[16:17], v[66:67]
	v_fma_f64 v[78:79], v[64:65], s[6:7], -v[72:73]
	v_fma_f64 v[72:73], v[64:65], s[6:7], v[72:73]
	v_add_f64 v[28:29], v[68:69], v[28:29]
	v_add_f64 v[30:31], v[66:67], v[30:31]
	v_mul_f64 v[66:67], v[44:45], s[20:21]
	v_add_f64 v[12:13], v[72:73], v[12:13]
	v_add_f64 v[10:11], v[78:79], v[10:11]
	v_fma_f64 v[68:69], v[64:65], s[22:23], -v[66:67]
	v_fma_f64 v[66:67], v[64:65], s[22:23], v[66:67]
	v_add_f64 v[46:47], v[68:69], v[46:47]
	v_add_f64 v[24:25], v[66:67], v[24:25]
	v_mul_f64 v[66:67], v[44:45], s[58:59]
	v_fma_f64 v[68:69], v[64:65], s[38:39], -v[66:67]
	v_fma_f64 v[66:67], v[64:65], s[38:39], v[66:67]
	v_add_f64 v[34:35], v[68:69], v[34:35]
	v_add_f64 v[48:49], v[66:67], v[48:49]
	v_mul_f64 v[66:67], v[44:45], s[54:55]
	;; [unrolled: 5-line block ×3, first 2 shown]
	v_mul_f64 v[68:69], v[44:45], s[36:37]
	v_mul_f64 v[44:45], v[44:45], s[26:27]
	v_fma_f64 v[74:75], v[64:65], s[18:19], -v[66:67]
	v_fma_f64 v[66:67], v[64:65], s[18:19], v[66:67]
	v_fma_f64 v[134:135], v[64:65], s[28:29], -v[44:45]
	v_fma_f64 v[44:45], v[64:65], s[28:29], v[44:45]
	;; [unrolled: 2-line block ×3, first 2 shown]
	v_add_f64 v[64:65], v[216:217], v[132:133]
	v_add_f64 v[14:15], v[74:75], v[14:15]
	;; [unrolled: 1-line block ×5, first 2 shown]
	v_add_f64 v[44:45], v[238:239], -v[128:129]
	v_add_f64 v[22:23], v[68:69], v[22:23]
	v_add_f64 v[20:21], v[76:77], v[20:21]
	v_mov_b32_e32 v239, v82
	v_mov_b32_e32 v238, v81
	v_mul_f64 v[66:67], v[44:45], s[40:41]
	v_mul_f64 v[72:73], v[44:45], s[50:51]
	v_fma_f64 v[68:69], v[64:65], s[6:7], -v[66:67]
	v_fma_f64 v[66:67], v[64:65], s[6:7], v[66:67]
	v_fma_f64 v[78:79], v[64:65], s[22:23], -v[72:73]
	v_fma_f64 v[72:73], v[64:65], s[22:23], v[72:73]
	v_add_f64 v[28:29], v[68:69], v[28:29]
	v_add_f64 v[30:31], v[66:67], v[30:31]
	v_mul_f64 v[66:67], v[44:45], s[30:31]
	v_add_f64 v[12:13], v[72:73], v[12:13]
	v_add_f64 v[10:11], v[78:79], v[10:11]
	v_fma_f64 v[68:69], v[64:65], s[38:39], -v[66:67]
	v_fma_f64 v[66:67], v[64:65], s[38:39], v[66:67]
	v_add_f64 v[46:47], v[68:69], v[46:47]
	v_add_f64 v[24:25], v[66:67], v[24:25]
	v_mul_f64 v[66:67], v[44:45], s[54:55]
	v_fma_f64 v[68:69], v[64:65], s[14:15], -v[66:67]
	v_fma_f64 v[66:67], v[64:65], s[14:15], v[66:67]
	v_add_f64 v[34:35], v[68:69], v[34:35]
	v_add_f64 v[48:49], v[66:67], v[48:49]
	v_mul_f64 v[66:67], v[44:45], s[42:43]
	;; [unrolled: 5-line block ×3, first 2 shown]
	v_mul_f64 v[68:69], v[44:45], s[26:27]
	v_mul_f64 v[44:45], v[44:45], s[44:45]
	v_fma_f64 v[74:75], v[64:65], s[16:17], -v[66:67]
	v_fma_f64 v[66:67], v[64:65], s[16:17], v[66:67]
	v_fma_f64 v[134:135], v[64:65], s[18:19], -v[44:45]
	v_fma_f64 v[44:45], v[64:65], s[18:19], v[44:45]
	;; [unrolled: 2-line block ×3, first 2 shown]
	v_add_f64 v[64:65], v[176:177], v[54:55]
	v_add_f64 v[14:15], v[74:75], v[14:15]
	;; [unrolled: 1-line block ×5, first 2 shown]
	v_add_f64 v[44:45], v[182:183], -v[130:131]
	v_add_f64 v[22:23], v[68:69], v[22:23]
	v_add_f64 v[20:21], v[76:77], v[20:21]
	v_mul_f64 v[66:67], v[44:45], s[8:9]
	v_mul_f64 v[72:73], v[44:45], s[36:37]
	v_fma_f64 v[68:69], v[64:65], s[14:15], -v[66:67]
	v_fma_f64 v[66:67], v[64:65], s[14:15], v[66:67]
	v_fma_f64 v[78:79], v[64:65], s[24:25], -v[72:73]
	v_fma_f64 v[72:73], v[64:65], s[24:25], v[72:73]
	v_add_f64 v[28:29], v[68:69], v[28:29]
	v_add_f64 v[30:31], v[66:67], v[30:31]
	v_mul_f64 v[66:67], v[44:45], s[56:57]
	v_add_f64 v[12:13], v[72:73], v[12:13]
	v_add_f64 v[10:11], v[78:79], v[10:11]
	v_fma_f64 v[68:69], v[64:65], s[28:29], -v[66:67]
	v_fma_f64 v[66:67], v[64:65], s[28:29], v[66:67]
	v_add_f64 v[46:47], v[68:69], v[46:47]
	v_add_f64 v[24:25], v[66:67], v[24:25]
	v_mul_f64 v[66:67], v[44:45], s[44:45]
	v_fma_f64 v[68:69], v[64:65], s[18:19], -v[66:67]
	v_fma_f64 v[66:67], v[64:65], s[18:19], v[66:67]
	v_add_f64 v[34:35], v[68:69], v[34:35]
	v_add_f64 v[48:49], v[66:67], v[48:49]
	v_mul_f64 v[66:67], v[44:45], s[52:53]
	;; [unrolled: 5-line block ×3, first 2 shown]
	v_mul_f64 v[68:69], v[44:45], s[48:49]
	v_mul_f64 v[44:45], v[44:45], s[20:21]
	v_fma_f64 v[74:75], v[64:65], s[38:39], -v[66:67]
	v_fma_f64 v[66:67], v[64:65], s[38:39], v[66:67]
	v_fma_f64 v[134:135], v[64:65], s[22:23], -v[44:45]
	v_fma_f64 v[44:45], v[64:65], s[22:23], v[44:45]
	v_fma_f64 v[76:77], v[64:65], s[6:7], -v[68:69]
	v_fma_f64 v[68:69], v[64:65], s[6:7], v[68:69]
	v_add_f64 v[64:65], v[168:169], v[56:57]
	v_add_f64 v[14:15], v[74:75], v[14:15]
	;; [unrolled: 1-line block ×5, first 2 shown]
	v_add_f64 v[44:45], v[170:171], -v[126:127]
	v_add_f64 v[22:23], v[68:69], v[22:23]
	v_add_f64 v[20:21], v[76:77], v[20:21]
	v_mul_f64 v[66:67], v[44:45], s[20:21]
	v_mul_f64 v[72:73], v[44:45], s[30:31]
	v_fma_f64 v[68:69], v[64:65], s[22:23], -v[66:67]
	v_fma_f64 v[66:67], v[64:65], s[22:23], v[66:67]
	v_fma_f64 v[78:79], v[64:65], s[38:39], -v[72:73]
	v_fma_f64 v[72:73], v[64:65], s[38:39], v[72:73]
	v_add_f64 v[28:29], v[68:69], v[28:29]
	v_add_f64 v[30:31], v[66:67], v[30:31]
	v_mul_f64 v[66:67], v[44:45], s[54:55]
	v_add_f64 v[12:13], v[72:73], v[12:13]
	v_add_f64 v[10:11], v[78:79], v[10:11]
	v_fma_f64 v[68:69], v[64:65], s[14:15], -v[66:67]
	v_fma_f64 v[66:67], v[64:65], s[14:15], v[66:67]
	v_add_f64 v[46:47], v[68:69], v[46:47]
	v_add_f64 v[24:25], v[66:67], v[24:25]
	v_mul_f64 v[66:67], v[44:45], s[36:37]
	v_fma_f64 v[68:69], v[64:65], s[24:25], -v[66:67]
	v_fma_f64 v[66:67], v[64:65], s[24:25], v[66:67]
	v_add_f64 v[34:35], v[68:69], v[34:35]
	v_add_f64 v[48:49], v[66:67], v[48:49]
	v_mul_f64 v[66:67], v[44:45], s[26:27]
	v_fma_f64 v[68:69], v[64:65], s[28:29], -v[66:67]
	v_fma_f64 v[66:67], v[64:65], s[28:29], v[66:67]
	v_add_f64 v[32:33], v[68:69], v[32:33]
	v_add_f64 v[18:19], v[66:67], v[18:19]
	v_mul_f64 v[66:67], v[44:45], s[48:49]
	v_mul_f64 v[68:69], v[44:45], s[46:47]
	v_mul_f64 v[44:45], v[44:45], s[34:35]
	v_fma_f64 v[74:75], v[64:65], s[6:7], -v[66:67]
	v_fma_f64 v[66:67], v[64:65], s[6:7], v[66:67]
	v_fma_f64 v[134:135], v[64:65], s[16:17], -v[44:45]
	v_fma_f64 v[44:45], v[64:65], s[16:17], v[44:45]
	;; [unrolled: 2-line block ×3, first 2 shown]
	v_add_f64 v[64:65], v[220:221], v[62:63]
	v_add_f64 v[14:15], v[74:75], v[14:15]
	;; [unrolled: 1-line block ×5, first 2 shown]
	buffer_load_dword v44, off, s[64:67], 0 offset:4 ; 4-byte Folded Reload
	buffer_load_dword v45, off, s[64:67], 0 offset:8 ; 4-byte Folded Reload
	v_add_f64 v[22:23], v[68:69], v[22:23]
	buffer_store_dword v216, off, s[64:67], 0 offset:160 ; 4-byte Folded Spill
	s_nop 0
	buffer_store_dword v217, off, s[64:67], 0 offset:164 ; 4-byte Folded Spill
	buffer_store_dword v176, off, s[64:67], 0 offset:144 ; 4-byte Folded Spill
	s_nop 0
	buffer_store_dword v177, off, s[64:67], 0 offset:148 ; 4-byte Folded Spill
	v_add_f64 v[20:21], v[76:77], v[20:21]
	buffer_store_dword v168, off, s[64:67], 0 offset:128 ; 4-byte Folded Spill
	s_nop 0
	buffer_store_dword v169, off, s[64:67], 0 offset:132 ; 4-byte Folded Spill
	buffer_store_dword v220, off, s[64:67], 0 offset:120 ; 4-byte Folded Spill
	s_nop 0
	buffer_store_dword v221, off, s[64:67], 0 offset:124 ; 4-byte Folded Spill
	ds_write2_b64 v60, v[8:9], v[6:7] offset0:98 offset1:105
	ds_write_b64 v60, v[2:3] offset:896
	buffer_load_dword v2, off, s[64:67], 0 offset:308 ; 4-byte Folded Reload
	buffer_load_dword v3, off, s[64:67], 0 offset:312 ; 4-byte Folded Reload
	s_waitcnt vmcnt(10)
	v_add_f64 v[44:45], v[44:45], -v[98:99]
	v_mul_f64 v[66:67], v[44:45], s[26:27]
	v_mul_f64 v[72:73], v[44:45], s[44:45]
	s_waitcnt vmcnt(1)
	v_mad_u32_u24 v2, v2, s33, 0
	s_waitcnt vmcnt(0)
	v_lshlrev_b32_sdwa v3, v80, v3 dst_sel:DWORD dst_unused:UNUSED_PAD src0_sel:DWORD src1_sel:BYTE_0
	v_add3_u32 v61, v2, v3, v83
	v_fma_f64 v[68:69], v[64:65], s[28:29], -v[66:67]
	v_fma_f64 v[66:67], v[64:65], s[28:29], v[66:67]
	v_fma_f64 v[78:79], v[64:65], s[18:19], -v[72:73]
	v_fma_f64 v[72:73], v[64:65], s[18:19], v[72:73]
	v_add_f64 v[28:29], v[68:69], v[28:29]
	v_add_f64 v[30:31], v[66:67], v[30:31]
	v_mul_f64 v[66:67], v[44:45], s[34:35]
	v_add_f64 v[78:79], v[78:79], v[10:11]
	v_mul_f64 v[10:11], v[136:137], s[30:31]
	v_add_f64 v[72:73], v[72:73], v[12:13]
	v_fma_f64 v[68:69], v[64:65], s[16:17], -v[66:67]
	v_fma_f64 v[66:67], v[64:65], s[16:17], v[66:67]
	v_fma_f64 v[12:13], v[140:141], s[38:39], -v[10:11]
	v_fma_f64 v[10:11], v[140:141], s[38:39], v[10:11]
	v_add_f64 v[46:47], v[68:69], v[46:47]
	v_add_f64 v[24:25], v[66:67], v[24:25]
	v_mul_f64 v[66:67], v[44:45], s[40:41]
	v_add_f64 v[10:11], v[10:11], v[30:31]
	v_add_f64 v[12:13], v[12:13], v[28:29]
	v_fma_f64 v[68:69], v[64:65], s[6:7], -v[66:67]
	v_fma_f64 v[66:67], v[64:65], s[6:7], v[66:67]
	v_add_f64 v[34:35], v[68:69], v[34:35]
	v_add_f64 v[48:49], v[66:67], v[48:49]
	v_mul_f64 v[66:67], v[44:45], s[50:51]
	v_fma_f64 v[68:69], v[64:65], s[22:23], -v[66:67]
	v_fma_f64 v[66:67], v[64:65], s[22:23], v[66:67]
	v_add_f64 v[32:33], v[68:69], v[32:33]
	v_add_f64 v[66:67], v[66:67], v[18:19]
	v_mul_f64 v[18:19], v[44:45], s[36:37]
	v_mul_f64 v[68:69], v[44:45], s[30:31]
	;; [unrolled: 1-line block ×3, first 2 shown]
	v_fma_f64 v[74:75], v[64:65], s[24:25], -v[18:19]
	v_fma_f64 v[18:19], v[64:65], s[24:25], v[18:19]
	v_fma_f64 v[76:77], v[64:65], s[38:39], -v[68:69]
	v_fma_f64 v[68:69], v[64:65], s[38:39], v[68:69]
	;; [unrolled: 2-line block ×3, first 2 shown]
	v_add_f64 v[64:65], v[74:75], v[14:15]
	v_mul_f64 v[14:15], v[136:137], s[42:43]
	v_add_f64 v[74:75], v[18:19], v[16:17]
	v_add_f64 v[68:69], v[68:69], v[22:23]
	v_mul_f64 v[22:23], v[136:137], s[44:45]
	v_mul_f64 v[18:19], v[136:137], s[26:27]
	v_add_f64 v[76:77], v[76:77], v[20:21]
	v_add_f64 v[134:135], v[134:135], v[42:43]
	;; [unrolled: 1-line block ×3, first 2 shown]
	v_fma_f64 v[16:17], v[140:141], s[24:25], -v[14:15]
	v_fma_f64 v[14:15], v[140:141], s[24:25], v[14:15]
	v_mul_f64 v[26:27], v[136:137], s[20:21]
	v_mul_f64 v[42:43], v[136:137], s[8:9]
	v_fma_f64 v[20:21], v[140:141], s[28:29], -v[18:19]
	v_fma_f64 v[18:19], v[140:141], s[28:29], v[18:19]
	v_add_f64 v[16:17], v[16:17], v[46:47]
	v_add_f64 v[14:15], v[14:15], v[24:25]
	v_fma_f64 v[24:25], v[140:141], s[18:19], -v[22:23]
	v_mul_f64 v[46:47], v[136:137], s[48:49]
	v_fma_f64 v[28:29], v[140:141], s[22:23], -v[26:27]
	v_add_f64 v[18:19], v[18:19], v[48:49]
	v_add_f64 v[20:21], v[20:21], v[34:35]
	v_fma_f64 v[34:35], v[140:141], s[14:15], -v[42:43]
	v_fma_f64 v[42:43], v[140:141], s[14:15], v[42:43]
	v_fma_f64 v[22:23], v[140:141], s[18:19], v[22:23]
	v_add_f64 v[24:25], v[24:25], v[32:33]
	v_mul_f64 v[32:33], v[136:137], s[34:35]
	v_fma_f64 v[48:49], v[140:141], s[6:7], -v[46:47]
	v_fma_f64 v[26:27], v[140:141], s[22:23], v[26:27]
	v_add_f64 v[28:29], v[28:29], v[64:65]
	v_add_f64 v[34:35], v[34:35], v[78:79]
	;; [unrolled: 1-line block ×4, first 2 shown]
	v_fma_f64 v[30:31], v[140:141], s[16:17], -v[32:33]
	v_fma_f64 v[32:33], v[140:141], s[16:17], v[32:33]
	v_add_f64 v[26:27], v[26:27], v[74:75]
	v_add_f64 v[30:31], v[30:31], v[76:77]
	;; [unrolled: 1-line block ×4, first 2 shown]
	v_fma_f64 v[48:49], v[140:141], s[6:7], v[46:47]
	v_add_f64 v[46:47], v[242:243], v[148:149]
	v_add_f64 v[44:45], v[48:49], v[44:45]
	;; [unrolled: 1-line block ×17, first 2 shown]
	ds_write2_b64 v61, v[46:47], v[12:13] offset1:7
	ds_write2_b64 v61, v[16:17], v[20:21] offset0:14 offset1:21
	ds_write2_b64 v61, v[24:25], v[28:29] offset0:28 offset1:35
	;; [unrolled: 1-line block ×7, first 2 shown]
	ds_write_b64 v61, v[10:11] offset:896
	s_and_saveexec_b64 s[60:61], s[0:1]
	s_cbranch_execz .LBB0_18
; %bb.17:
	v_mov_b32_e32 v171, v127
	v_mov_b32_e32 v170, v126
	;; [unrolled: 1-line block ×6, first 2 shown]
	buffer_load_dword v81, off, s[64:67], 0 offset:244 ; 4-byte Folded Reload
	buffer_load_dword v82, off, s[64:67], 0 offset:248 ; 4-byte Folded Reload
	;; [unrolled: 1-line block ×10, first 2 shown]
	v_mov_b32_e32 v206, v112
	buffer_load_dword v112, off, s[64:67], 0 offset:64 ; 4-byte Folded Reload
	buffer_load_dword v113, off, s[64:67], 0 offset:68 ; 4-byte Folded Reload
	;; [unrolled: 1-line block ×10, first 2 shown]
	v_mov_b32_e32 v220, v62
	buffer_load_dword v62, off, s[64:67], 0 offset:104 ; 4-byte Folded Reload
	buffer_load_dword v63, off, s[64:67], 0 offset:108 ; 4-byte Folded Reload
	;; [unrolled: 1-line block ×4, first 2 shown]
	v_add_f64 v[244:245], v[122:123], -v[246:247]
	v_mov_b32_e32 v157, v71
	v_mov_b32_e32 v156, v70
	v_add_f64 v[76:77], v[110:111], -v[114:115]
	v_add_f64 v[68:69], v[104:105], -v[88:89]
	;; [unrolled: 1-line block ×3, first 2 shown]
	v_mov_b32_e32 v70, v224
	v_mov_b32_e32 v71, v225
	v_mul_f64 v[136:137], v[244:245], s[30:31]
	v_add_f64 v[30:31], v[222:223], -v[186:187]
	v_mov_b32_e32 v219, v151
	v_mul_f64 v[48:49], v[76:77], s[44:45]
	v_mul_f64 v[44:45], v[68:69], s[20:21]
	;; [unrolled: 1-line block ×3, first 2 shown]
	v_mov_b32_e32 v218, v150
	v_mul_f64 v[210:211], v[244:245], s[20:21]
	v_mov_b32_e32 v169, v57
	v_mul_f64 v[6:7], v[30:31], s[48:49]
	v_mov_b32_e32 v168, v56
	v_mov_b32_e32 v56, v174
	;; [unrolled: 1-line block ×20, first 2 shown]
	s_waitcnt vmcnt(20)
	v_add_f64 v[14:15], v[81:82], v[92:93]
	s_waitcnt vmcnt(18)
	v_add_f64 v[16:17], v[250:251], v[188:189]
	s_waitcnt vmcnt(16)
	v_add_f64 v[32:33], v[8:9], -v[86:87]
	s_waitcnt vmcnt(14)
	v_add_f64 v[18:19], v[94:95], v[70:71]
	v_mov_b32_e32 v86, v222
	s_waitcnt vmcnt(10)
	v_add_f64 v[20:21], v[112:113], v[124:125]
	s_waitcnt vmcnt(8)
	v_add_f64 v[22:23], v[118:119], v[138:139]
	;; [unrolled: 2-line block ×3, first 2 shown]
	s_waitcnt vmcnt(4)
	v_add_f64 v[78:79], v[26:27], -v[116:117]
	v_fma_f64 v[2:3], v[14:15], s[6:7], v[6:7]
	s_waitcnt vmcnt(2)
	v_add_f64 v[26:27], v[62:63], v[150:151]
	s_waitcnt vmcnt(0)
	v_add_f64 v[242:243], v[28:29], -v[90:91]
	v_add_f64 v[28:29], v[142:143], v[156:157]
	v_fma_f64 v[46:47], v[20:21], s[22:23], v[44:45]
	v_fma_f64 v[64:65], v[22:23], s[18:19], v[48:49]
	v_mul_f64 v[8:9], v[32:33], s[8:9]
	v_mul_f64 v[66:67], v[78:79], s[26:27]
	v_fma_f64 v[42:43], v[18:19], s[16:17], v[12:13]
	v_mul_f64 v[150:151], v[244:245], s[26:27]
	v_mul_f64 v[74:75], v[242:243], s[42:43]
	v_fma_f64 v[140:141], v[28:29], s[38:39], v[136:137]
	v_fma_f64 v[6:7], v[14:15], s[6:7], -v[6:7]
	v_mov_b32_e32 v87, v223
	v_fma_f64 v[10:11], v[16:17], s[14:15], v[8:9]
	v_fma_f64 v[72:73], v[24:25], s[28:29], v[66:67]
	v_fma_f64 v[8:9], v[16:17], s[14:15], -v[8:9]
	v_fma_f64 v[198:199], v[28:29], s[28:29], v[150:151]
	v_fma_f64 v[134:135], v[26:27], s[24:25], v[74:75]
	v_add_f64 v[140:141], v[4:5], v[140:141]
	v_fma_f64 v[222:223], v[28:29], s[22:23], v[210:211]
	v_mov_b32_e32 v139, v82
	v_mov_b32_e32 v138, v81
	;; [unrolled: 1-line block ×4, first 2 shown]
	v_add_f64 v[198:199], v[4:5], v[198:199]
	v_mov_b32_e32 v139, v103
	v_add_f64 v[134:135], v[134:135], v[140:141]
	v_add_f64 v[222:223], v[4:5], v[222:223]
	v_mov_b32_e32 v138, v102
	v_mov_b32_e32 v103, v101
	;; [unrolled: 1-line block ×3, first 2 shown]
	v_add_f64 v[72:73], v[72:73], v[134:135]
	v_add_f64 v[64:65], v[64:65], v[72:73]
	;; [unrolled: 1-line block ×4, first 2 shown]
	v_fma_f64 v[46:47], v[26:27], s[24:25], -v[74:75]
	v_mul_f64 v[74:75], v[78:79], s[40:41]
	v_add_f64 v[10:11], v[10:11], v[42:43]
	v_fma_f64 v[42:43], v[22:23], s[18:19], -v[48:49]
	v_fma_f64 v[48:49], v[28:29], s[38:39], -v[136:137]
	v_mul_f64 v[136:137], v[242:243], s[34:35]
	v_fma_f64 v[134:135], v[24:25], s[6:7], v[74:75]
	v_add_f64 v[144:145], v[2:3], v[10:11]
	v_fma_f64 v[10:11], v[18:19], s[16:17], -v[12:13]
	v_add_f64 v[48:49], v[4:5], v[48:49]
	v_fma_f64 v[12:13], v[20:21], s[22:23], -v[44:45]
	v_fma_f64 v[44:45], v[24:25], s[28:29], -v[66:67]
	v_fma_f64 v[140:141], v[26:27], s[16:17], v[136:137]
	v_mul_f64 v[66:67], v[76:77], s[50:51]
	v_mov_b32_e32 v2, v98
	v_mov_b32_e32 v3, v99
	;; [unrolled: 1-line block ×3, first 2 shown]
	v_add_f64 v[46:47], v[46:47], v[48:49]
	v_mul_f64 v[48:49], v[68:69], s[36:37]
	v_mov_b32_e32 v99, v117
	v_add_f64 v[140:141], v[140:141], v[198:199]
	v_fma_f64 v[72:73], v[22:23], s[22:23], v[66:67]
	v_mov_b32_e32 v117, v111
	v_mov_b32_e32 v116, v110
	;; [unrolled: 1-line block ×3, first 2 shown]
	v_add_f64 v[44:45], v[44:45], v[46:47]
	v_fma_f64 v[64:65], v[20:21], s[24:25], v[48:49]
	v_mov_b32_e32 v110, v104
	v_add_f64 v[134:135], v[134:135], v[140:141]
	v_mov_b32_e32 v105, v93
	v_mov_b32_e32 v104, v92
	v_mul_f64 v[92:93], v[244:245], s[46:47]
	v_mov_b32_e32 v96, v104
	v_add_f64 v[42:43], v[42:43], v[44:45]
	v_mul_f64 v[44:45], v[34:35], s[30:31]
	v_mov_b32_e32 v97, v105
	v_add_f64 v[72:73], v[72:73], v[134:135]
	v_mov_b32_e32 v104, v110
	v_mov_b32_e32 v105, v111
	v_fma_f64 v[81:82], v[28:29], s[18:19], v[92:93]
	v_fma_f64 v[92:93], v[28:29], s[18:19], -v[92:93]
	v_add_f64 v[12:13], v[12:13], v[42:43]
	v_fma_f64 v[46:47], v[18:19], s[38:39], v[44:45]
	v_mov_b32_e32 v110, v116
	v_add_f64 v[64:65], v[64:65], v[72:73]
	v_mov_b32_e32 v111, v117
	v_mov_b32_e32 v117, v99
	v_add_f64 v[81:82], v[4:5], v[81:82]
	v_add_f64 v[92:93], v[4:5], v[92:93]
	;; [unrolled: 1-line block ×3, first 2 shown]
	v_mul_f64 v[12:13], v[32:33], s[44:45]
	v_mov_b32_e32 v116, v98
	v_add_f64 v[46:47], v[46:47], v[64:65]
	v_fma_f64 v[64:65], v[26:27], s[16:17], -v[136:137]
	v_mul_f64 v[136:137], v[78:79], s[36:37]
	v_mov_b32_e32 v99, v3
	v_mov_b32_e32 v98, v2
	v_add_f64 v[8:9], v[8:9], v[10:11]
	v_fma_f64 v[42:43], v[16:17], s[18:19], v[12:13]
	v_mul_f64 v[10:11], v[30:31], s[8:9]
	v_fma_f64 v[12:13], v[16:17], s[18:19], -v[12:13]
	v_fma_f64 v[140:141], v[24:25], s[24:25], v[136:137]
	v_add_f64 v[6:7], v[6:7], v[8:9]
	v_add_f64 v[42:43], v[42:43], v[46:47]
	v_fma_f64 v[46:47], v[22:23], s[22:23], -v[66:67]
	v_fma_f64 v[66:67], v[28:29], s[28:29], -v[150:151]
	v_fma_f64 v[8:9], v[14:15], s[14:15], v[10:11]
	v_mul_f64 v[150:151], v[242:243], s[54:55]
	v_fma_f64 v[10:11], v[14:15], s[14:15], -v[10:11]
	v_add_f64 v[66:67], v[4:5], v[66:67]
	v_add_f64 v[8:9], v[8:9], v[42:43]
	v_fma_f64 v[42:43], v[18:19], s[38:39], -v[44:45]
	v_fma_f64 v[44:45], v[20:21], s[24:25], -v[48:49]
	;; [unrolled: 1-line block ×3, first 2 shown]
	v_fma_f64 v[198:199], v[26:27], s[14:15], v[150:151]
	v_mul_f64 v[74:75], v[76:77], s[26:27]
	v_add_f64 v[64:65], v[64:65], v[66:67]
	v_mul_f64 v[66:67], v[68:69], s[48:49]
	v_add_f64 v[198:199], v[198:199], v[222:223]
	v_fma_f64 v[134:135], v[22:23], s[28:29], v[74:75]
	v_mul_f64 v[222:223], v[244:245], s[8:9]
	v_add_f64 v[48:49], v[48:49], v[64:65]
	v_fma_f64 v[72:73], v[20:21], s[6:7], v[66:67]
	v_add_f64 v[140:141], v[140:141], v[198:199]
	v_mul_f64 v[198:199], v[242:243], s[56:57]
	v_fma_f64 v[224:225], v[28:29], s[14:15], v[222:223]
	v_add_f64 v[46:47], v[46:47], v[48:49]
	v_mul_f64 v[48:49], v[34:35], s[46:47]
	v_add_f64 v[134:135], v[134:135], v[140:141]
	v_mul_f64 v[140:141], v[78:79], s[44:45]
	v_add_f64 v[224:225], v[4:5], v[224:225]
	v_add_f64 v[44:45], v[44:45], v[46:47]
	v_fma_f64 v[64:65], v[18:19], s[18:19], v[48:49]
	v_add_f64 v[72:73], v[72:73], v[134:135]
	v_mul_f64 v[134:135], v[76:77], s[52:53]
	v_add_f64 v[42:43], v[42:43], v[44:45]
	v_mul_f64 v[44:45], v[32:33], s[30:31]
	v_add_f64 v[64:65], v[64:65], v[72:73]
	v_fma_f64 v[72:73], v[26:27], s[14:15], -v[150:151]
	v_fma_f64 v[150:151], v[24:25], s[18:19], v[140:141]
	v_add_f64 v[12:13], v[12:13], v[42:43]
	v_fma_f64 v[46:47], v[16:17], s[38:39], v[44:45]
	v_mul_f64 v[42:43], v[30:31], s[34:35]
	v_fma_f64 v[44:45], v[16:17], s[38:39], -v[44:45]
	v_add_f64 v[10:11], v[10:11], v[12:13]
	v_add_f64 v[46:47], v[46:47], v[64:65]
	v_fma_f64 v[64:65], v[22:23], s[28:29], -v[74:75]
	v_fma_f64 v[74:75], v[28:29], s[22:23], -v[210:211]
	v_fma_f64 v[12:13], v[14:15], s[16:17], v[42:43]
	v_fma_f64 v[210:211], v[26:27], s[28:29], v[198:199]
	v_fma_f64 v[42:43], v[14:15], s[16:17], -v[42:43]
	v_add_f64 v[74:75], v[4:5], v[74:75]
	v_add_f64 v[12:13], v[12:13], v[46:47]
	v_fma_f64 v[46:47], v[18:19], s[18:19], -v[48:49]
	v_fma_f64 v[48:49], v[20:21], s[6:7], -v[66:67]
	;; [unrolled: 1-line block ×3, first 2 shown]
	v_add_f64 v[210:211], v[210:211], v[224:225]
	v_fma_f64 v[136:137], v[22:23], s[16:17], v[134:135]
	v_add_f64 v[72:73], v[72:73], v[74:75]
	v_add_f64 v[150:151], v[150:151], v[210:211]
	;; [unrolled: 1-line block ×3, first 2 shown]
	v_mul_f64 v[72:73], v[68:69], s[30:31]
	v_add_f64 v[136:137], v[136:137], v[150:151]
	v_add_f64 v[64:65], v[64:65], v[66:67]
	v_fma_f64 v[74:75], v[20:21], s[38:39], v[72:73]
	v_add_f64 v[48:49], v[48:49], v[64:65]
	v_mul_f64 v[64:65], v[34:35], s[48:49]
	v_add_f64 v[74:75], v[74:75], v[136:137]
	v_add_f64 v[46:47], v[46:47], v[48:49]
	v_fma_f64 v[66:67], v[18:19], s[6:7], v[64:65]
	v_add_f64 v[44:45], v[44:45], v[46:47]
	v_mul_f64 v[46:47], v[32:33], s[36:37]
	v_add_f64 v[66:67], v[66:67], v[74:75]
	v_fma_f64 v[74:75], v[28:29], s[14:15], -v[222:223]
	v_mul_f64 v[222:223], v[244:245], s[40:41]
	v_add_f64 v[54:55], v[42:43], v[44:45]
	v_mul_f64 v[42:43], v[30:31], s[20:21]
	v_fma_f64 v[48:49], v[16:17], s[24:25], v[46:47]
	v_add_f64 v[74:75], v[4:5], v[74:75]
	v_fma_f64 v[224:225], v[28:29], s[6:7], v[222:223]
	v_fma_f64 v[44:45], v[14:15], s[22:23], v[42:43]
	v_add_f64 v[48:49], v[48:49], v[66:67]
	v_fma_f64 v[66:67], v[24:25], s[18:19], -v[140:141]
	v_mul_f64 v[140:141], v[78:79], s[54:55]
	v_add_f64 v[224:225], v[4:5], v[224:225]
	v_fma_f64 v[42:43], v[14:15], s[22:23], -v[42:43]
	v_add_f64 v[248:249], v[44:45], v[48:49]
	v_fma_f64 v[48:49], v[20:21], s[38:39], -v[72:73]
	v_fma_f64 v[72:73], v[26:27], s[28:29], -v[198:199]
	v_mul_f64 v[198:199], v[242:243], s[30:31]
	v_fma_f64 v[44:45], v[16:17], s[24:25], -v[46:47]
	v_fma_f64 v[46:47], v[18:19], s[6:7], -v[64:65]
	;; [unrolled: 1-line block ×3, first 2 shown]
	v_mul_f64 v[134:135], v[76:77], s[42:43]
	v_fma_f64 v[150:151], v[24:25], s[14:15], v[140:141]
	v_add_f64 v[72:73], v[72:73], v[74:75]
	v_fma_f64 v[210:211], v[26:27], s[38:39], v[198:199]
	v_fma_f64 v[136:137], v[22:23], s[24:25], v[134:135]
	v_add_f64 v[66:67], v[66:67], v[72:73]
	v_add_f64 v[210:211], v[210:211], v[224:225]
	v_mul_f64 v[72:73], v[68:69], s[52:53]
	v_add_f64 v[64:65], v[64:65], v[66:67]
	v_add_f64 v[150:151], v[150:151], v[210:211]
	v_fma_f64 v[74:75], v[20:21], s[16:17], v[72:73]
	v_add_f64 v[48:49], v[48:49], v[64:65]
	v_mul_f64 v[64:65], v[34:35], s[26:27]
	v_add_f64 v[136:137], v[136:137], v[150:151]
	v_add_f64 v[46:47], v[46:47], v[48:49]
	v_fma_f64 v[66:67], v[18:19], s[28:29], v[64:65]
	v_add_f64 v[74:75], v[74:75], v[136:137]
	v_add_f64 v[44:45], v[44:45], v[46:47]
	v_mul_f64 v[46:47], v[32:33], s[50:51]
	v_add_f64 v[66:67], v[66:67], v[74:75]
	v_fma_f64 v[74:75], v[28:29], s[6:7], -v[222:223]
	v_mul_f64 v[222:223], v[244:245], s[52:53]
	v_add_f64 v[128:129], v[42:43], v[44:45]
	v_mul_f64 v[42:43], v[30:31], s[44:45]
	v_fma_f64 v[48:49], v[16:17], s[22:23], v[46:47]
	v_add_f64 v[74:75], v[4:5], v[74:75]
	v_fma_f64 v[224:225], v[28:29], s[16:17], v[222:223]
	v_fma_f64 v[44:45], v[14:15], s[18:19], v[42:43]
	v_add_f64 v[48:49], v[48:49], v[66:67]
	v_fma_f64 v[66:67], v[24:25], s[14:15], -v[140:141]
	v_mul_f64 v[140:141], v[78:79], s[58:59]
	v_add_f64 v[224:225], v[4:5], v[224:225]
	v_fma_f64 v[42:43], v[14:15], s[18:19], -v[42:43]
	v_add_f64 v[130:131], v[44:45], v[48:49]
	v_fma_f64 v[48:49], v[20:21], s[16:17], -v[72:73]
	v_fma_f64 v[72:73], v[26:27], s[38:39], -v[198:199]
	v_mul_f64 v[198:199], v[242:243], s[20:21]
	v_fma_f64 v[44:45], v[16:17], s[22:23], -v[46:47]
	v_fma_f64 v[46:47], v[18:19], s[28:29], -v[64:65]
	;; [unrolled: 1-line block ×3, first 2 shown]
	v_mul_f64 v[134:135], v[76:77], s[54:55]
	v_fma_f64 v[150:151], v[24:25], s[38:39], v[140:141]
	v_add_f64 v[72:73], v[72:73], v[74:75]
	v_fma_f64 v[210:211], v[26:27], s[22:23], v[198:199]
	v_fma_f64 v[136:137], v[22:23], s[14:15], v[134:135]
	v_add_f64 v[66:67], v[66:67], v[72:73]
	v_add_f64 v[210:211], v[210:211], v[224:225]
	v_mul_f64 v[72:73], v[68:69], s[44:45]
	v_add_f64 v[64:65], v[64:65], v[66:67]
	v_add_f64 v[150:151], v[150:151], v[210:211]
	v_fma_f64 v[74:75], v[20:21], s[18:19], v[72:73]
	v_add_f64 v[48:49], v[48:49], v[64:65]
	v_mul_f64 v[64:65], v[34:35], s[36:37]
	v_add_f64 v[136:137], v[136:137], v[150:151]
	v_add_f64 v[46:47], v[46:47], v[48:49]
	v_fma_f64 v[66:67], v[18:19], s[24:25], v[64:65]
	v_add_f64 v[74:75], v[74:75], v[136:137]
	v_add_f64 v[44:45], v[44:45], v[46:47]
	v_mul_f64 v[46:47], v[32:33], s[40:41]
	v_add_f64 v[66:67], v[66:67], v[74:75]
	v_fma_f64 v[74:75], v[26:27], s[22:23], -v[198:199]
	v_mul_f64 v[198:199], v[78:79], s[20:21]
	v_mul_f64 v[78:79], v[78:79], s[52:53]
	v_add_f64 v[160:161], v[42:43], v[44:45]
	v_fma_f64 v[48:49], v[16:17], s[6:7], v[46:47]
	v_mul_f64 v[44:45], v[30:31], s[26:27]
	v_fma_f64 v[46:47], v[16:17], s[6:7], -v[46:47]
	v_fma_f64 v[210:211], v[24:25], s[22:23], v[198:199]
	v_add_f64 v[48:49], v[48:49], v[66:67]
	v_fma_f64 v[66:67], v[22:23], s[14:15], -v[134:135]
	v_fma_f64 v[134:135], v[28:29], s[16:17], -v[222:223]
	v_fma_f64 v[42:43], v[14:15], s[28:29], v[44:45]
	v_mul_f64 v[222:223], v[242:243], s[40:41]
	v_fma_f64 v[44:45], v[14:15], s[28:29], -v[44:45]
	v_add_f64 v[134:135], v[4:5], v[134:135]
	v_add_f64 v[42:43], v[42:43], v[48:49]
	v_fma_f64 v[48:49], v[18:19], s[24:25], -v[64:65]
	v_fma_f64 v[64:65], v[20:21], s[18:19], -v[72:73]
	;; [unrolled: 1-line block ×3, first 2 shown]
	v_fma_f64 v[224:225], v[26:27], s[6:7], v[222:223]
	v_mul_f64 v[140:141], v[76:77], s[30:31]
	v_mul_f64 v[76:77], v[76:77], s[40:41]
	v_add_f64 v[74:75], v[74:75], v[134:135]
	v_mul_f64 v[134:135], v[68:69], s[56:57]
	v_mul_f64 v[68:69], v[68:69], s[8:9]
	v_add_f64 v[81:82], v[224:225], v[81:82]
	v_fma_f64 v[150:151], v[22:23], s[38:39], v[140:141]
	v_mov_b32_e32 v225, v71
	v_add_f64 v[72:73], v[72:73], v[74:75]
	v_fma_f64 v[136:137], v[20:21], s[28:29], v[134:135]
	v_mov_b32_e32 v224, v70
	v_mov_b32_e32 v70, v156
	;; [unrolled: 1-line block ×3, first 2 shown]
	v_add_f64 v[81:82], v[210:211], v[81:82]
	v_add_f64 v[66:67], v[66:67], v[72:73]
	v_mul_f64 v[72:73], v[34:35], s[54:55]
	v_mul_f64 v[34:35], v[34:35], s[20:21]
	v_add_f64 v[81:82], v[150:151], v[81:82]
	v_add_f64 v[64:65], v[64:65], v[66:67]
	v_fma_f64 v[74:75], v[18:19], s[14:15], v[72:73]
	v_add_f64 v[81:82], v[136:137], v[81:82]
	v_add_f64 v[48:49], v[48:49], v[64:65]
	v_mul_f64 v[64:65], v[32:33], s[34:35]
	v_mul_f64 v[32:33], v[32:33], s[26:27]
	v_add_f64 v[74:75], v[74:75], v[81:82]
	v_fma_f64 v[81:82], v[24:25], s[22:23], -v[198:199]
	v_add_f64 v[46:47], v[46:47], v[48:49]
	v_fma_f64 v[66:67], v[16:17], s[16:17], v[64:65]
	v_mul_f64 v[48:49], v[30:31], s[42:43]
	v_fma_f64 v[64:65], v[16:17], s[16:17], -v[64:65]
	v_add_f64 v[44:45], v[44:45], v[46:47]
	v_add_f64 v[66:67], v[66:67], v[74:75]
	v_fma_f64 v[74:75], v[22:23], s[38:39], -v[140:141]
	v_mul_f64 v[140:141], v[244:245], s[36:37]
	v_fma_f64 v[46:47], v[14:15], s[24:25], v[48:49]
	v_fma_f64 v[48:49], v[14:15], s[24:25], -v[48:49]
	v_fma_f64 v[150:151], v[28:29], s[24:25], v[140:141]
	v_fma_f64 v[28:29], v[28:29], s[24:25], -v[140:141]
	v_add_f64 v[46:47], v[46:47], v[66:67]
	v_fma_f64 v[66:67], v[18:19], s[14:15], -v[72:73]
	v_fma_f64 v[72:73], v[20:21], s[28:29], -v[134:135]
	v_fma_f64 v[134:135], v[26:27], s[6:7], -v[222:223]
	v_mov_b32_e32 v223, v87
	v_mov_b32_e32 v222, v86
	v_add_f64 v[150:151], v[4:5], v[150:151]
	v_add_f64 v[28:29], v[4:5], v[28:29]
	;; [unrolled: 1-line block ×3, first 2 shown]
	v_mov_b32_e32 v87, v85
	v_mov_b32_e32 v86, v84
	v_add_f64 v[92:93], v[134:135], v[92:93]
	v_mul_f64 v[134:135], v[242:243], s[46:47]
	v_mov_b32_e32 v84, v114
	v_mov_b32_e32 v85, v115
	;; [unrolled: 1-line block ×3, first 2 shown]
	v_add_f64 v[4:5], v[4:5], v[62:63]
	v_mov_b32_e32 v115, v191
	v_mov_b32_e32 v190, v174
	v_add_f64 v[81:82], v[81:82], v[92:93]
	v_fma_f64 v[136:137], v[26:27], s[18:19], v[134:135]
	v_fma_f64 v[26:27], v[26:27], s[18:19], -v[134:135]
	v_fma_f64 v[92:93], v[24:25], s[16:17], v[78:79]
	v_fma_f64 v[24:25], v[24:25], s[16:17], -v[78:79]
	v_add_f64 v[4:5], v[4:5], v[120:121]
	v_mov_b32_e32 v175, v57
	v_mov_b32_e32 v174, v56
	v_add_f64 v[74:75], v[74:75], v[81:82]
	v_add_f64 v[136:137], v[136:137], v[150:151]
	v_add_f64 v[26:27], v[26:27], v[28:29]
	v_fma_f64 v[81:82], v[22:23], s[6:7], v[76:77]
	v_fma_f64 v[22:23], v[22:23], s[6:7], -v[76:77]
	v_add_f64 v[4:5], v[4:5], v[118:119]
	v_mov_b32_e32 v150, v218
	v_mov_b32_e32 v151, v219
	v_add_f64 v[72:73], v[72:73], v[74:75]
	v_add_f64 v[92:93], v[92:93], v[136:137]
	v_add_f64 v[24:25], v[24:25], v[26:27]
	;; [unrolled: 8-line block ×4, first 2 shown]
	v_fma_f64 v[66:67], v[16:17], s[28:29], v[32:33]
	v_fma_f64 v[16:17], v[16:17], s[28:29], -v[32:33]
	v_add_f64 v[4:5], v[4:5], v[250:251]
	v_mov_b32_e32 v62, v220
	v_mov_b32_e32 v206, v126
	v_add_f64 v[48:49], v[48:49], v[64:65]
	v_mul_f64 v[64:65], v[30:31], s[30:31]
	v_add_f64 v[18:19], v[18:19], v[20:21]
	v_add_f64 v[72:73], v[72:73], v[74:75]
	v_mov_b32_e32 v126, v170
	v_add_f64 v[4:5], v[4:5], v[152:153]
	v_mov_b32_e32 v57, v169
	v_mov_b32_e32 v63, v221
	;; [unrolled: 1-line block ×3, first 2 shown]
	v_fma_f64 v[30:31], v[14:15], s[38:39], v[64:65]
	v_fma_f64 v[14:15], v[14:15], s[38:39], -v[64:65]
	v_add_f64 v[16:17], v[16:17], v[18:19]
	v_add_f64 v[66:67], v[66:67], v[72:73]
	;; [unrolled: 1-line block ×6, first 2 shown]
	v_lshlrev_b32_sdwa v16, v80, v190 dst_sel:DWORD dst_unused:UNUSED_PAD src0_sel:DWORD src1_sel:BYTE_0
	v_add3_u32 v16, 0, v16, v83
	v_add_u32_e32 v17, 0x800, v16
	v_add_f64 v[4:5], v[4:5], v[224:225]
	v_add_f64 v[4:5], v[4:5], v[124:125]
	v_add_f64 v[4:5], v[4:5], v[138:139]
	v_add_f64 v[4:5], v[4:5], v[112:113]
	v_add_f64 v[4:5], v[4:5], v[150:151]
	v_add_f64 v[4:5], v[4:5], v[70:71]
	ds_write2_b64 v17, v[4:5], v[14:15] offset0:220 offset1:227
	ds_write2_b64 v17, v[48:49], v[44:45] offset0:234 offset1:241
	;; [unrolled: 1-line block ×3, first 2 shown]
	v_add_u32_e32 v4, 0x1000, v16
	v_mov_b32_e32 v128, v180
	ds_write2_b64 v4, v[54:55], v[10:11] offset0:6 offset1:13
	v_mov_b32_e32 v54, v176
	ds_write2_b64 v4, v[6:7], v[144:145] offset0:20 offset1:27
	ds_write2_b64 v4, v[8:9], v[12:13] offset0:34 offset1:41
	ds_write2_b64 v4, v[248:249], v[130:131] offset0:48 offset1:55
	v_mov_b32_e32 v130, v182
	v_mov_b32_e32 v129, v181
	v_mov_b32_e32 v55, v177
	v_mov_b32_e32 v131, v183
	ds_write2_b64 v4, v[42:43], v[46:47] offset0:62 offset1:69
	ds_write_b64 v16, v[30:31] offset:4704
.LBB0_18:
	s_or_b64 exec, exec, s[60:61]
	buffer_load_dword v4, off, s[64:67], 0 offset:268 ; 4-byte Folded Reload
	buffer_load_dword v5, off, s[64:67], 0 offset:272 ; 4-byte Folded Reload
	v_mov_b32_e32 v45, v1
	v_mov_b32_e32 v44, v0
	buffer_load_dword v0, off, s[64:67], 0 offset:260 ; 4-byte Folded Reload
	buffer_load_dword v1, off, s[64:67], 0 offset:264 ; 4-byte Folded Reload
	;; [unrolled: 1-line block ×16, first 2 shown]
	s_waitcnt vmcnt(16)
	v_add_f64 v[2:3], v[212:213], v[4:5]
	v_add_f64 v[2:3], v[2:3], v[44:45]
	s_waitcnt vmcnt(0)
	v_add_f64 v[44:45], v[44:45], v[46:47]
	v_add_f64 v[2:3], v[2:3], v[0:1]
	;; [unrolled: 1-line block ×14, first 2 shown]
	v_add_f64 v[46:47], v[184:185], -v[50:51]
	v_add_f64 v[242:243], v[2:3], v[58:59]
	v_add_f64 v[2:3], v[4:5], v[58:59]
	v_add_f64 v[4:5], v[214:215], -v[52:53]
	v_mul_f64 v[6:7], v[4:5], s[36:37]
	v_mul_f64 v[10:11], v[4:5], s[46:47]
	;; [unrolled: 1-line block ×8, first 2 shown]
	v_fma_f64 v[8:9], v[2:3], s[24:25], v[6:7]
	v_fma_f64 v[6:7], v[2:3], s[24:25], -v[6:7]
	v_fma_f64 v[12:13], v[2:3], s[18:19], v[10:11]
	v_fma_f64 v[10:11], v[2:3], s[18:19], -v[10:11]
	;; [unrolled: 2-line block ×8, first 2 shown]
	v_add_f64 v[6:7], v[212:213], v[6:7]
	v_add_f64 v[8:9], v[212:213], v[8:9]
	v_add_f64 v[10:11], v[212:213], v[10:11]
	v_add_f64 v[12:13], v[212:213], v[12:13]
	v_add_f64 v[14:15], v[212:213], v[14:15]
	v_add_f64 v[16:17], v[212:213], v[16:17]
	v_add_f64 v[18:19], v[212:213], v[18:19]
	v_add_f64 v[42:43], v[212:213], v[2:3]
	v_mul_f64 v[2:3], v[46:47], s[46:47]
	v_add_f64 v[20:21], v[212:213], v[20:21]
	v_add_f64 v[22:23], v[212:213], v[22:23]
	;; [unrolled: 1-line block ×7, first 2 shown]
	v_fma_f64 v[4:5], v[44:45], s[18:19], v[2:3]
	v_fma_f64 v[2:3], v[44:45], s[18:19], -v[2:3]
	v_add_f64 v[32:33], v[212:213], v[32:33]
	v_add_f64 v[48:49], v[4:5], v[8:9]
	v_add_f64 v[50:51], v[2:3], v[6:7]
	v_mul_f64 v[2:3], v[46:47], s[40:41]
	v_mul_f64 v[8:9], v[46:47], s[42:43]
	v_fma_f64 v[4:5], v[44:45], s[6:7], v[2:3]
	v_fma_f64 v[2:3], v[44:45], s[6:7], -v[2:3]
	v_fma_f64 v[6:7], v[44:45], s[24:25], v[8:9]
	v_fma_f64 v[8:9], v[44:45], s[24:25], -v[8:9]
	v_add_f64 v[52:53], v[4:5], v[12:13]
	v_add_f64 v[58:59], v[2:3], v[10:11]
	v_mul_f64 v[2:3], v[46:47], s[20:21]
	v_add_f64 v[6:7], v[6:7], v[34:35]
	v_add_f64 v[8:9], v[8:9], v[42:43]
	v_fma_f64 v[4:5], v[44:45], s[22:23], v[2:3]
	v_fma_f64 v[2:3], v[44:45], s[22:23], -v[2:3]
	v_add_f64 v[16:17], v[4:5], v[16:17]
	v_add_f64 v[14:15], v[2:3], v[14:15]
	v_mul_f64 v[2:3], v[46:47], s[30:31]
	v_fma_f64 v[4:5], v[44:45], s[38:39], v[2:3]
	v_fma_f64 v[2:3], v[44:45], s[38:39], -v[2:3]
	v_add_f64 v[20:21], v[4:5], v[20:21]
	v_add_f64 v[18:19], v[2:3], v[18:19]
	v_mul_f64 v[2:3], v[46:47], s[56:57]
	;; [unrolled: 5-line block ×3, first 2 shown]
	v_fma_f64 v[4:5], v[44:45], s[14:15], v[2:3]
	v_fma_f64 v[2:3], v[44:45], s[14:15], -v[2:3]
	v_add_f64 v[10:11], v[4:5], v[28:29]
	v_add_f64 v[12:13], v[2:3], v[26:27]
	;; [unrolled: 1-line block ×3, first 2 shown]
	buffer_load_dword v0, off, s[64:67], 0 offset:276 ; 4-byte Folded Reload
	buffer_load_dword v1, off, s[64:67], 0 offset:280 ; 4-byte Folded Reload
	v_mul_f64 v[4:5], v[46:47], s[34:35]
	v_fma_f64 v[2:3], v[44:45], s[16:17], v[4:5]
	v_fma_f64 v[4:5], v[44:45], s[16:17], -v[4:5]
	v_add_f64 v[2:3], v[2:3], v[32:33]
	v_add_f64 v[4:5], v[4:5], v[30:31]
	s_waitcnt vmcnt(0)
	v_add_f64 v[28:29], v[240:241], -v[0:1]
	v_mul_f64 v[44:45], v[28:29], s[58:59]
	v_mul_f64 v[30:31], v[28:29], s[52:53]
	;; [unrolled: 1-line block ×3, first 2 shown]
	v_fma_f64 v[46:47], v[26:27], s[38:39], v[44:45]
	v_fma_f64 v[44:45], v[26:27], s[38:39], -v[44:45]
	v_fma_f64 v[32:33], v[26:27], s[16:17], v[30:31]
	v_fma_f64 v[30:31], v[26:27], s[16:17], -v[30:31]
	;; [unrolled: 2-line block ×3, first 2 shown]
	v_add_f64 v[16:17], v[46:47], v[16:17]
	v_add_f64 v[14:15], v[44:45], v[14:15]
	v_mul_f64 v[44:45], v[28:29], s[54:55]
	v_add_f64 v[30:31], v[30:31], v[50:51]
	v_add_f64 v[32:33], v[32:33], v[48:49]
	;; [unrolled: 1-line block ×4, first 2 shown]
	v_fma_f64 v[46:47], v[26:27], s[14:15], v[44:45]
	v_fma_f64 v[44:45], v[26:27], s[14:15], -v[44:45]
	v_add_f64 v[20:21], v[46:47], v[20:21]
	v_add_f64 v[18:19], v[44:45], v[18:19]
	v_mul_f64 v[44:45], v[28:29], s[44:45]
	v_fma_f64 v[46:47], v[26:27], s[18:19], v[44:45]
	v_fma_f64 v[44:45], v[26:27], s[18:19], -v[44:45]
	v_add_f64 v[24:25], v[46:47], v[24:25]
	v_add_f64 v[22:23], v[44:45], v[22:23]
	v_mul_f64 v[44:45], v[28:29], s[36:37]
	v_fma_f64 v[46:47], v[26:27], s[24:25], v[44:45]
	v_fma_f64 v[44:45], v[26:27], s[24:25], -v[44:45]
	v_add_f64 v[10:11], v[46:47], v[10:11]
	v_add_f64 v[12:13], v[44:45], v[12:13]
	v_mul_f64 v[44:45], v[28:29], s[40:41]
	v_mul_f64 v[28:29], v[28:29], s[26:27]
	v_fma_f64 v[46:47], v[26:27], s[6:7], v[44:45]
	v_fma_f64 v[44:45], v[26:27], s[6:7], -v[44:45]
	v_add_f64 v[2:3], v[46:47], v[2:3]
	v_add_f64 v[4:5], v[44:45], v[4:5]
	v_fma_f64 v[44:45], v[26:27], s[28:29], v[28:29]
	v_fma_f64 v[26:27], v[26:27], s[28:29], -v[28:29]
	v_add_f64 v[28:29], v[200:201], -v[194:195]
	v_add_f64 v[6:7], v[44:45], v[6:7]
	v_add_f64 v[8:9], v[26:27], v[8:9]
	v_add_f64 v[26:27], v[72:73], v[74:75]
	v_mul_f64 v[44:45], v[28:29], s[40:41]
	v_fma_f64 v[46:47], v[26:27], s[6:7], v[44:45]
	v_fma_f64 v[44:45], v[26:27], s[6:7], -v[44:45]
	v_add_f64 v[32:33], v[46:47], v[32:33]
	v_add_f64 v[30:31], v[44:45], v[30:31]
	v_mul_f64 v[44:45], v[28:29], s[30:31]
	v_fma_f64 v[46:47], v[26:27], s[38:39], v[44:45]
	v_fma_f64 v[44:45], v[26:27], s[38:39], -v[44:45]
	v_add_f64 v[42:43], v[46:47], v[42:43]
	v_add_f64 v[34:35], v[44:45], v[34:35]
	v_mul_f64 v[44:45], v[28:29], s[54:55]
	v_fma_f64 v[46:47], v[26:27], s[14:15], v[44:45]
	v_fma_f64 v[44:45], v[26:27], s[14:15], -v[44:45]
	v_add_f64 v[16:17], v[46:47], v[16:17]
	v_add_f64 v[14:15], v[44:45], v[14:15]
	v_mul_f64 v[44:45], v[28:29], s[42:43]
	v_fma_f64 v[46:47], v[26:27], s[24:25], v[44:45]
	v_fma_f64 v[44:45], v[26:27], s[24:25], -v[44:45]
	v_add_f64 v[20:21], v[46:47], v[20:21]
	v_add_f64 v[18:19], v[44:45], v[18:19]
	v_mul_f64 v[44:45], v[28:29], s[52:53]
	v_fma_f64 v[46:47], v[26:27], s[16:17], v[44:45]
	v_fma_f64 v[44:45], v[26:27], s[16:17], -v[44:45]
	v_add_f64 v[24:25], v[46:47], v[24:25]
	v_add_f64 v[22:23], v[44:45], v[22:23]
	v_mul_f64 v[44:45], v[28:29], s[26:27]
	v_fma_f64 v[46:47], v[26:27], s[28:29], v[44:45]
	v_fma_f64 v[44:45], v[26:27], s[28:29], -v[44:45]
	v_add_f64 v[10:11], v[46:47], v[10:11]
	v_add_f64 v[12:13], v[44:45], v[12:13]
	v_mul_f64 v[44:45], v[28:29], s[50:51]
	v_mul_f64 v[28:29], v[28:29], s[44:45]
	v_fma_f64 v[46:47], v[26:27], s[22:23], v[44:45]
	v_fma_f64 v[44:45], v[26:27], s[22:23], -v[44:45]
	v_add_f64 v[2:3], v[46:47], v[2:3]
	v_add_f64 v[4:5], v[44:45], v[4:5]
	v_fma_f64 v[44:45], v[26:27], s[18:19], v[28:29]
	v_fma_f64 v[26:27], v[26:27], s[18:19], -v[28:29]
	v_add_f64 v[28:29], v[154:155], -v[172:173]
	v_add_f64 v[6:7], v[44:45], v[6:7]
	v_add_f64 v[8:9], v[26:27], v[8:9]
	v_add_f64 v[26:27], v[68:69], v[235:236]
	v_mul_f64 v[44:45], v[28:29], s[8:9]
	v_fma_f64 v[46:47], v[26:27], s[14:15], v[44:45]
	v_fma_f64 v[44:45], v[26:27], s[14:15], -v[44:45]
	v_add_f64 v[32:33], v[46:47], v[32:33]
	v_add_f64 v[30:31], v[44:45], v[30:31]
	v_mul_f64 v[44:45], v[28:29], s[56:57]
	v_fma_f64 v[46:47], v[26:27], s[28:29], v[44:45]
	v_fma_f64 v[44:45], v[26:27], s[28:29], -v[44:45]
	v_add_f64 v[42:43], v[46:47], v[42:43]
	v_add_f64 v[34:35], v[44:45], v[34:35]
	v_mul_f64 v[44:45], v[28:29], s[44:45]
	v_fma_f64 v[46:47], v[26:27], s[18:19], v[44:45]
	v_fma_f64 v[44:45], v[26:27], s[18:19], -v[44:45]
	v_add_f64 v[16:17], v[46:47], v[16:17]
	v_add_f64 v[14:15], v[44:45], v[14:15]
	v_mul_f64 v[44:45], v[28:29], s[52:53]
	;; [unrolled: 42-line block ×3, first 2 shown]
	v_fma_f64 v[46:47], v[26:27], s[28:29], v[44:45]
	v_fma_f64 v[44:45], v[26:27], s[28:29], -v[44:45]
	v_add_f64 v[20:21], v[46:47], v[20:21]
	v_add_f64 v[18:19], v[44:45], v[18:19]
	v_mul_f64 v[44:45], v[28:29], s[48:49]
	v_fma_f64 v[46:47], v[26:27], s[6:7], v[44:45]
	v_fma_f64 v[44:45], v[26:27], s[6:7], -v[44:45]
	v_add_f64 v[24:25], v[46:47], v[24:25]
	v_add_f64 v[22:23], v[44:45], v[22:23]
	v_mul_f64 v[44:45], v[28:29], s[46:47]
	;; [unrolled: 5-line block ×3, first 2 shown]
	v_mul_f64 v[28:29], v[28:29], s[34:35]
	v_fma_f64 v[46:47], v[26:27], s[38:39], v[44:45]
	v_fma_f64 v[44:45], v[26:27], s[38:39], -v[44:45]
	v_add_f64 v[2:3], v[46:47], v[2:3]
	v_add_f64 v[4:5], v[44:45], v[4:5]
	v_fma_f64 v[44:45], v[26:27], s[16:17], v[28:29]
	v_fma_f64 v[26:27], v[26:27], s[16:17], -v[28:29]
	buffer_load_dword v28, off, s[64:67], 0 offset:192 ; 4-byte Folded Reload
	buffer_load_dword v29, off, s[64:67], 0 offset:196 ; 4-byte Folded Reload
	v_add_f64 v[6:7], v[44:45], v[6:7]
	v_add_f64 v[8:9], v[26:27], v[8:9]
	;; [unrolled: 1-line block ×3, first 2 shown]
	s_waitcnt vmcnt(0)
	v_add_f64 v[28:29], v[28:29], -v[178:179]
	v_mul_f64 v[44:45], v[28:29], s[26:27]
	v_fma_f64 v[46:47], v[26:27], s[28:29], v[44:45]
	v_fma_f64 v[44:45], v[26:27], s[28:29], -v[44:45]
	v_add_f64 v[32:33], v[46:47], v[32:33]
	v_add_f64 v[30:31], v[44:45], v[30:31]
	v_mul_f64 v[44:45], v[28:29], s[34:35]
	v_fma_f64 v[46:47], v[26:27], s[16:17], v[44:45]
	v_fma_f64 v[44:45], v[26:27], s[16:17], -v[44:45]
	v_add_f64 v[42:43], v[46:47], v[42:43]
	v_add_f64 v[34:35], v[44:45], v[34:35]
	;; [unrolled: 5-line block ×6, first 2 shown]
	v_mul_f64 v[44:45], v[28:29], s[44:45]
	v_mul_f64 v[28:29], v[28:29], s[8:9]
	v_fma_f64 v[46:47], v[26:27], s[18:19], v[44:45]
	v_fma_f64 v[44:45], v[26:27], s[18:19], -v[44:45]
	v_add_f64 v[2:3], v[46:47], v[2:3]
	v_add_f64 v[4:5], v[44:45], v[4:5]
	v_fma_f64 v[44:45], v[26:27], s[14:15], v[28:29]
	v_fma_f64 v[26:27], v[26:27], s[14:15], -v[28:29]
	buffer_load_dword v28, off, s[64:67], 0 offset:184 ; 4-byte Folded Reload
	buffer_load_dword v29, off, s[64:67], 0 offset:188 ; 4-byte Folded Reload
	v_add_f64 v[6:7], v[44:45], v[6:7]
	v_add_f64 v[8:9], v[26:27], v[8:9]
	;; [unrolled: 1-line block ×3, first 2 shown]
	s_waitcnt vmcnt(0)
	v_add_f64 v[28:29], v[28:29], -v[164:165]
	v_mul_f64 v[44:45], v[28:29], s[30:31]
	v_fma_f64 v[46:47], v[26:27], s[38:39], v[44:45]
	v_add_f64 v[156:157], v[46:47], v[32:33]
	v_fma_f64 v[32:33], v[26:27], s[38:39], -v[44:45]
	v_add_f64 v[154:155], v[32:33], v[30:31]
	v_mul_f64 v[30:31], v[28:29], s[42:43]
	v_fma_f64 v[32:33], v[26:27], s[24:25], v[30:31]
	v_fma_f64 v[30:31], v[26:27], s[24:25], -v[30:31]
	v_add_f64 v[160:161], v[32:33], v[42:43]
	v_add_f64 v[158:159], v[30:31], v[34:35]
	v_mul_f64 v[30:31], v[28:29], s[26:27]
	v_fma_f64 v[32:33], v[26:27], s[28:29], v[30:31]
	v_add_f64 v[164:165], v[32:33], v[16:17]
	v_fma_f64 v[16:17], v[26:27], s[28:29], -v[30:31]
	v_add_f64 v[162:163], v[16:17], v[14:15]
	v_mul_f64 v[14:15], v[28:29], s[44:45]
	v_fma_f64 v[16:17], v[26:27], s[18:19], v[14:15]
	v_fma_f64 v[14:15], v[26:27], s[18:19], -v[14:15]
	v_add_f64 v[168:169], v[16:17], v[20:21]
	v_add_f64 v[166:167], v[14:15], v[18:19]
	v_mul_f64 v[14:15], v[28:29], s[20:21]
	v_fma_f64 v[16:17], v[26:27], s[22:23], v[14:15]
	v_fma_f64 v[14:15], v[26:27], s[22:23], -v[14:15]
	v_add_f64 v[176:177], v[16:17], v[24:25]
	v_add_f64 v[170:171], v[14:15], v[22:23]
	v_mul_f64 v[14:15], v[28:29], s[34:35]
	v_fma_f64 v[16:17], v[26:27], s[16:17], v[14:15]
	v_add_f64 v[178:179], v[16:17], v[10:11]
	v_fma_f64 v[10:11], v[26:27], s[16:17], -v[14:15]
	v_add_f64 v[180:181], v[10:11], v[12:13]
	v_mul_f64 v[10:11], v[28:29], s[8:9]
	v_fma_f64 v[12:13], v[26:27], s[14:15], v[10:11]
	v_add_f64 v[182:183], v[12:13], v[2:3]
	v_fma_f64 v[2:3], v[26:27], s[14:15], -v[10:11]
	v_add_f64 v[198:199], v[2:3], v[4:5]
	v_mul_f64 v[2:3], v[28:29], s[48:49]
	v_fma_f64 v[4:5], v[26:27], s[6:7], v[2:3]
	v_fma_f64 v[2:3], v[26:27], s[6:7], -v[2:3]
	v_add_f64 v[200:201], v[4:5], v[6:7]
	buffer_load_dword v4, off, s[64:67], 0 offset:176 ; 4-byte Folded Reload
	buffer_load_dword v5, off, s[64:67], 0 offset:180 ; 4-byte Folded Reload
	;; [unrolled: 1-line block ×14, first 2 shown]
	v_add_f64 v[202:203], v[2:3], v[8:9]
	s_waitcnt vmcnt(12)
	v_add_f64 v[2:3], v[196:197], v[4:5]
	s_waitcnt vmcnt(10)
	;; [unrolled: 2-line block ×7, first 2 shown]
	v_add_f64 v[2:3], v[2:3], v[42:43]
	v_add_f64 v[2:3], v[2:3], v[206:207]
	;; [unrolled: 1-line block ×11, first 2 shown]
	v_add_f64 v[4:5], v[148:149], -v[36:37]
	v_add_f64 v[36:37], v[254:255], -v[208:209]
	v_mul_f64 v[6:7], v[4:5], s[36:37]
	v_mul_f64 v[10:11], v[4:5], s[46:47]
	;; [unrolled: 1-line block ×8, first 2 shown]
	v_fma_f64 v[8:9], v[2:3], s[24:25], v[6:7]
	v_fma_f64 v[6:7], v[2:3], s[24:25], -v[6:7]
	v_fma_f64 v[12:13], v[2:3], s[18:19], v[10:11]
	v_fma_f64 v[10:11], v[2:3], s[18:19], -v[10:11]
	;; [unrolled: 2-line block ×8, first 2 shown]
	v_add_f64 v[4:5], v[52:53], v[40:41]
	v_mul_f64 v[38:39], v[36:37], s[46:47]
	v_add_f64 v[6:7], v[196:197], v[6:7]
	v_add_f64 v[8:9], v[196:197], v[8:9]
	;; [unrolled: 1-line block ×7, first 2 shown]
	v_fma_f64 v[40:41], v[4:5], s[18:19], v[38:39]
	v_fma_f64 v[38:39], v[4:5], s[18:19], -v[38:39]
	v_add_f64 v[20:21], v[196:197], v[20:21]
	v_add_f64 v[22:23], v[196:197], v[22:23]
	;; [unrolled: 1-line block ×8, first 2 shown]
	v_mul_f64 v[38:39], v[36:37], s[40:41]
	v_add_f64 v[34:35], v[196:197], v[34:35]
	v_add_f64 v[2:3], v[196:197], v[2:3]
	;; [unrolled: 1-line block ×3, first 2 shown]
	v_fma_f64 v[40:41], v[4:5], s[6:7], v[38:39]
	v_fma_f64 v[38:39], v[4:5], s[6:7], -v[38:39]
	v_add_f64 v[12:13], v[40:41], v[12:13]
	v_add_f64 v[10:11], v[38:39], v[10:11]
	v_mul_f64 v[38:39], v[36:37], s[20:21]
	v_fma_f64 v[40:41], v[4:5], s[22:23], v[38:39]
	v_fma_f64 v[38:39], v[4:5], s[22:23], -v[38:39]
	v_add_f64 v[16:17], v[40:41], v[16:17]
	v_add_f64 v[14:15], v[38:39], v[14:15]
	v_mul_f64 v[38:39], v[36:37], s[30:31]
	;; [unrolled: 5-line block ×5, first 2 shown]
	v_mul_f64 v[36:37], v[36:37], s[42:43]
	v_fma_f64 v[40:41], v[4:5], s[16:17], v[38:39]
	v_fma_f64 v[38:39], v[4:5], s[16:17], -v[38:39]
	v_add_f64 v[32:33], v[40:41], v[32:33]
	v_add_f64 v[30:31], v[38:39], v[30:31]
	v_fma_f64 v[38:39], v[4:5], s[24:25], v[36:37]
	v_fma_f64 v[4:5], v[4:5], s[24:25], -v[36:37]
	v_add_f64 v[36:37], v[238:239], -v[146:147]
	v_add_f64 v[34:35], v[38:39], v[34:35]
	v_add_f64 v[2:3], v[4:5], v[2:3]
	;; [unrolled: 1-line block ×3, first 2 shown]
	v_mul_f64 v[38:39], v[36:37], s[52:53]
	v_fma_f64 v[40:41], v[4:5], s[16:17], v[38:39]
	v_fma_f64 v[38:39], v[4:5], s[16:17], -v[38:39]
	v_add_f64 v[8:9], v[40:41], v[8:9]
	v_add_f64 v[6:7], v[38:39], v[6:7]
	v_mul_f64 v[38:39], v[36:37], s[20:21]
	v_fma_f64 v[40:41], v[4:5], s[22:23], v[38:39]
	v_fma_f64 v[38:39], v[4:5], s[22:23], -v[38:39]
	v_add_f64 v[12:13], v[40:41], v[12:13]
	v_add_f64 v[10:11], v[38:39], v[10:11]
	v_mul_f64 v[38:39], v[36:37], s[58:59]
	v_fma_f64 v[40:41], v[4:5], s[38:39], v[38:39]
	v_fma_f64 v[38:39], v[4:5], s[38:39], -v[38:39]
	v_add_f64 v[16:17], v[40:41], v[16:17]
	v_add_f64 v[14:15], v[38:39], v[14:15]
	v_mul_f64 v[38:39], v[36:37], s[54:55]
	v_fma_f64 v[40:41], v[4:5], s[14:15], v[38:39]
	v_fma_f64 v[38:39], v[4:5], s[14:15], -v[38:39]
	v_add_f64 v[20:21], v[40:41], v[20:21]
	v_add_f64 v[18:19], v[38:39], v[18:19]
	v_mul_f64 v[38:39], v[36:37], s[44:45]
	v_fma_f64 v[40:41], v[4:5], s[18:19], v[38:39]
	v_fma_f64 v[38:39], v[4:5], s[18:19], -v[38:39]
	v_add_f64 v[24:25], v[40:41], v[24:25]
	v_add_f64 v[22:23], v[38:39], v[22:23]
	v_mul_f64 v[38:39], v[36:37], s[36:37]
	v_fma_f64 v[40:41], v[4:5], s[24:25], v[38:39]
	v_fma_f64 v[38:39], v[4:5], s[24:25], -v[38:39]
	v_add_f64 v[28:29], v[40:41], v[28:29]
	v_add_f64 v[26:27], v[38:39], v[26:27]
	v_mul_f64 v[38:39], v[36:37], s[40:41]
	v_mul_f64 v[36:37], v[36:37], s[26:27]
	v_fma_f64 v[40:41], v[4:5], s[6:7], v[38:39]
	v_fma_f64 v[38:39], v[4:5], s[6:7], -v[38:39]
	v_add_f64 v[32:33], v[40:41], v[32:33]
	v_add_f64 v[30:31], v[38:39], v[30:31]
	v_fma_f64 v[38:39], v[4:5], s[28:29], v[36:37]
	v_fma_f64 v[4:5], v[4:5], s[28:29], -v[36:37]
	buffer_load_dword v36, off, s[64:67], 0 offset:160 ; 4-byte Folded Reload
	buffer_load_dword v37, off, s[64:67], 0 offset:164 ; 4-byte Folded Reload
	v_add_f64 v[34:35], v[38:39], v[34:35]
	v_add_f64 v[2:3], v[4:5], v[2:3]
	v_add_f64 v[4:5], v[48:49], v[128:129]
	s_waitcnt vmcnt(0)
	v_add_f64 v[36:37], v[36:37], -v[132:133]
	v_mul_f64 v[38:39], v[36:37], s[40:41]
	v_fma_f64 v[40:41], v[4:5], s[6:7], v[38:39]
	v_fma_f64 v[38:39], v[4:5], s[6:7], -v[38:39]
	v_add_f64 v[8:9], v[40:41], v[8:9]
	v_add_f64 v[6:7], v[38:39], v[6:7]
	v_mul_f64 v[38:39], v[36:37], s[30:31]
	v_fma_f64 v[40:41], v[4:5], s[38:39], v[38:39]
	v_fma_f64 v[38:39], v[4:5], s[38:39], -v[38:39]
	v_add_f64 v[12:13], v[40:41], v[12:13]
	v_add_f64 v[10:11], v[38:39], v[10:11]
	v_mul_f64 v[38:39], v[36:37], s[54:55]
	v_fma_f64 v[40:41], v[4:5], s[14:15], v[38:39]
	v_fma_f64 v[38:39], v[4:5], s[14:15], -v[38:39]
	v_add_f64 v[16:17], v[40:41], v[16:17]
	v_add_f64 v[14:15], v[38:39], v[14:15]
	v_mul_f64 v[38:39], v[36:37], s[42:43]
	v_fma_f64 v[40:41], v[4:5], s[24:25], v[38:39]
	v_fma_f64 v[38:39], v[4:5], s[24:25], -v[38:39]
	v_add_f64 v[20:21], v[40:41], v[20:21]
	v_add_f64 v[18:19], v[38:39], v[18:19]
	v_mul_f64 v[38:39], v[36:37], s[52:53]
	v_fma_f64 v[40:41], v[4:5], s[16:17], v[38:39]
	v_fma_f64 v[38:39], v[4:5], s[16:17], -v[38:39]
	v_add_f64 v[24:25], v[40:41], v[24:25]
	v_add_f64 v[22:23], v[38:39], v[22:23]
	v_mul_f64 v[38:39], v[36:37], s[26:27]
	v_fma_f64 v[40:41], v[4:5], s[28:29], v[38:39]
	v_fma_f64 v[38:39], v[4:5], s[28:29], -v[38:39]
	v_add_f64 v[28:29], v[40:41], v[28:29]
	v_add_f64 v[26:27], v[38:39], v[26:27]
	v_mul_f64 v[38:39], v[36:37], s[50:51]
	v_mul_f64 v[36:37], v[36:37], s[44:45]
	v_fma_f64 v[40:41], v[4:5], s[22:23], v[38:39]
	v_fma_f64 v[38:39], v[4:5], s[22:23], -v[38:39]
	v_add_f64 v[32:33], v[40:41], v[32:33]
	v_add_f64 v[30:31], v[38:39], v[30:31]
	v_fma_f64 v[38:39], v[4:5], s[18:19], v[36:37]
	v_fma_f64 v[4:5], v[4:5], s[18:19], -v[36:37]
	buffer_load_dword v36, off, s[64:67], 0 offset:144 ; 4-byte Folded Reload
	buffer_load_dword v37, off, s[64:67], 0 offset:148 ; 4-byte Folded Reload
	v_add_f64 v[34:35], v[38:39], v[34:35]
	v_add_f64 v[2:3], v[4:5], v[2:3]
	v_add_f64 v[4:5], v[46:47], v[130:131]
	s_waitcnt vmcnt(0)
	v_add_f64 v[36:37], v[36:37], -v[54:55]
	;; [unrolled: 45-line block ×3, first 2 shown]
	v_mul_f64 v[38:39], v[36:37], s[20:21]
	v_fma_f64 v[40:41], v[4:5], s[22:23], v[38:39]
	v_fma_f64 v[38:39], v[4:5], s[22:23], -v[38:39]
	v_add_f64 v[8:9], v[40:41], v[8:9]
	v_add_f64 v[6:7], v[38:39], v[6:7]
	v_mul_f64 v[38:39], v[36:37], s[54:55]
	v_fma_f64 v[40:41], v[4:5], s[14:15], v[38:39]
	v_fma_f64 v[38:39], v[4:5], s[14:15], -v[38:39]
	v_add_f64 v[12:13], v[40:41], v[12:13]
	v_add_f64 v[10:11], v[38:39], v[10:11]
	;; [unrolled: 5-line block ×6, first 2 shown]
	v_mul_f64 v[38:39], v[36:37], s[30:31]
	v_mul_f64 v[36:37], v[36:37], s[34:35]
	v_fma_f64 v[40:41], v[4:5], s[38:39], v[38:39]
	v_fma_f64 v[38:39], v[4:5], s[38:39], -v[38:39]
	v_add_f64 v[32:33], v[40:41], v[32:33]
	v_add_f64 v[30:31], v[38:39], v[30:31]
	v_fma_f64 v[38:39], v[4:5], s[16:17], v[36:37]
	v_fma_f64 v[4:5], v[4:5], s[16:17], -v[36:37]
	buffer_load_dword v36, off, s[64:67], 0 offset:120 ; 4-byte Folded Reload
	buffer_load_dword v37, off, s[64:67], 0 offset:124 ; 4-byte Folded Reload
	s_waitcnt lgkmcnt(0)
	; wave barrier
	s_waitcnt lgkmcnt(0)
	v_add_f64 v[34:35], v[38:39], v[34:35]
	v_add_f64 v[2:3], v[4:5], v[2:3]
	;; [unrolled: 1-line block ×3, first 2 shown]
	s_waitcnt vmcnt(0)
	v_add_f64 v[36:37], v[36:37], -v[62:63]
	v_mul_f64 v[38:39], v[36:37], s[26:27]
	v_fma_f64 v[40:41], v[4:5], s[28:29], v[38:39]
	v_fma_f64 v[38:39], v[4:5], s[28:29], -v[38:39]
	v_add_f64 v[8:9], v[40:41], v[8:9]
	v_add_f64 v[6:7], v[38:39], v[6:7]
	v_mul_f64 v[38:39], v[36:37], s[34:35]
	v_fma_f64 v[40:41], v[4:5], s[16:17], v[38:39]
	v_fma_f64 v[38:39], v[4:5], s[16:17], -v[38:39]
	v_add_f64 v[12:13], v[40:41], v[12:13]
	v_add_f64 v[10:11], v[38:39], v[10:11]
	;; [unrolled: 5-line block ×6, first 2 shown]
	v_mul_f64 v[38:39], v[36:37], s[44:45]
	v_mul_f64 v[36:37], v[36:37], s[8:9]
	v_fma_f64 v[40:41], v[4:5], s[18:19], v[38:39]
	v_fma_f64 v[38:39], v[4:5], s[18:19], -v[38:39]
	v_add_f64 v[32:33], v[40:41], v[32:33]
	v_add_f64 v[30:31], v[38:39], v[30:31]
	v_fma_f64 v[38:39], v[4:5], s[14:15], v[36:37]
	v_fma_f64 v[4:5], v[4:5], s[14:15], -v[36:37]
	v_add_f64 v[36:37], v[102:103], -v[174:175]
	v_add_f64 v[34:35], v[38:39], v[34:35]
	v_add_f64 v[2:3], v[4:5], v[2:3]
	;; [unrolled: 1-line block ×3, first 2 shown]
	v_mul_f64 v[38:39], v[36:37], s[30:31]
	v_fma_f64 v[40:41], v[4:5], s[38:39], v[38:39]
	v_add_f64 v[42:43], v[40:41], v[8:9]
	v_fma_f64 v[8:9], v[4:5], s[38:39], -v[38:39]
	v_add_f64 v[44:45], v[8:9], v[6:7]
	v_mul_f64 v[6:7], v[36:37], s[42:43]
	v_fma_f64 v[8:9], v[4:5], s[24:25], v[6:7]
	v_fma_f64 v[6:7], v[4:5], s[24:25], -v[6:7]
	v_add_f64 v[46:47], v[8:9], v[12:13]
	v_add_f64 v[48:49], v[6:7], v[10:11]
	v_mul_f64 v[6:7], v[36:37], s[26:27]
	v_fma_f64 v[8:9], v[4:5], s[28:29], v[6:7]
	v_fma_f64 v[6:7], v[4:5], s[28:29], -v[6:7]
	v_add_f64 v[50:51], v[8:9], v[16:17]
	;; [unrolled: 5-line block ×7, first 2 shown]
	v_add_f64 v[140:141], v[4:5], v[2:3]
	buffer_load_dword v2, off, s[64:67], 0  ; 4-byte Folded Reload
	v_add_u32_e32 v34, 0x800, v237
	s_waitcnt vmcnt(0)
	ds_read_b64 v[126:127], v2
	ds_read2_b64 v[2:5], v237 offset0:119 offset1:136
	ds_read2_b64 v[10:13], v237 offset0:221 offset1:238
	;; [unrolled: 1-line block ×4, first 2 shown]
	buffer_load_dword v18, off, s[64:67], 0 offset:32 ; 4-byte Folded Reload
	s_waitcnt vmcnt(0)
	ds_read_b64 v[128:129], v18
	v_add_u32_e32 v18, 0x400, v237
	ds_read2_b64 v[22:25], v18 offset0:127 offset1:144
	ds_read2_b64 v[18:21], v34 offset0:237 offset1:254
	buffer_load_dword v192, off, s[64:67], 0 offset:28 ; 4-byte Folded Reload
	s_waitcnt vmcnt(0)
	v_lshlrev_b32_e32 v26, 3, v192
	v_add3_u32 v136, 0, v26, v83
	ds_read_b64 v[130:131], v136
	ds_read2_b64 v[26:29], v237 offset0:153 offset1:170
	ds_read2_b64 v[30:33], v34 offset0:135 offset1:152
	buffer_load_dword v191, off, s[64:67], 0 offset:36 ; 4-byte Folded Reload
	s_waitcnt vmcnt(0)
	v_lshlrev_b32_e32 v35, 3, v191
	v_add3_u32 v137, 0, v35, v83
	ds_read_b64 v[132:133], v137
	ds_read2_b64 v[66:69], v34 offset0:33 offset1:50
	buffer_load_dword v172, off, s[64:67], 0 offset:40 ; 4-byte Folded Reload
	v_add_u32_e32 v35, 0x1000, v237
	ds_read2_b64 v[62:65], v35 offset0:15 offset1:32
	s_waitcnt vmcnt(0)
	v_lshlrev_b32_e32 v36, 3, v172
	v_add3_u32 v80, 0, v36, v83
	ds_read_b64 v[134:135], v80
	ds_read2_b64 v[54:57], v237 offset0:187 offset1:204
	ds_read2_b64 v[72:75], v34 offset0:169 offset1:186
	;; [unrolled: 1-line block ×5, first 2 shown]
	s_waitcnt lgkmcnt(0)
	; wave barrier
	s_waitcnt lgkmcnt(0)
	ds_write2_b64 v60, v[242:243], v[156:157] offset1:7
	ds_write2_b64 v60, v[160:161], v[164:165] offset0:14 offset1:21
	ds_write2_b64 v60, v[168:169], v[176:177] offset0:28 offset1:35
	;; [unrolled: 1-line block ×7, first 2 shown]
	ds_write_b64 v60, v[154:155] offset:896
	ds_write2_b64 v61, v[204:205], v[42:43] offset1:7
	ds_write2_b64 v61, v[46:47], v[50:51] offset0:14 offset1:21
	ds_write2_b64 v61, v[58:59], v[92:93] offset0:28 offset1:35
	;; [unrolled: 1-line block ×7, first 2 shown]
	ds_write_b64 v61, v[44:45] offset:896
	s_and_saveexec_b64 s[6:7], s[0:1]
	s_cbranch_execz .LBB0_20
; %bb.19:
	buffer_load_dword v42, off, s[64:67], 0 offset:340 ; 4-byte Folded Reload
	buffer_load_dword v43, off, s[64:67], 0 offset:344 ; 4-byte Folded Reload
	;; [unrolled: 1-line block ×12, first 2 shown]
	v_add_f64 v[46:47], v[142:143], -v[70:71]
	s_mov_b32 s26, 0x5d8e7cdc
	s_mov_b32 s40, 0x2a9d6da3
	;; [unrolled: 1-line block ×4, first 2 shown]
	s_waitcnt vmcnt(8)
	v_add_f64 v[44:45], v[122:123], v[246:247]
	s_mov_b32 s8, 0x370991
	s_mov_b32 s14, 0x75d4884
	v_mul_f64 v[52:53], v[46:47], s[26:27]
	v_mul_f64 v[58:59], v[46:47], s[40:41]
	s_mov_b32 s44, 0x7c9e640b
	s_mov_b32 s36, 0xeb564b22
	s_mov_b32 s20, 0x923c349f
	s_mov_b32 s24, 0x6c9a05f6
	s_mov_b32 s30, 0x4363dd80
	s_mov_b32 s38, 0xacd6c6b4
	s_mov_b32 s9, 0x3fedd6d0
	s_mov_b32 s15, 0x3fe7a5f6
	s_mov_b32 s45, 0xbfeca52d
	s_mov_b32 s37, 0xbfefdd0d
	s_mov_b32 s21, 0xbfeec746
	s_mov_b32 s25, 0xbfe9895b
	s_mov_b32 s31, 0xbfe0d888
	s_mov_b32 s39, 0xbfc7851a
	v_mul_f64 v[60:61], v[46:47], s[44:45]
	v_mul_f64 v[81:82], v[46:47], s[36:37]
	;; [unrolled: 1-line block ×6, first 2 shown]
	v_fma_f64 v[124:125], v[44:45], s[14:15], v[58:59]
	s_mov_b32 s0, 0x2b2883cd
	s_mov_b32 s16, 0x3259b75e
	;; [unrolled: 1-line block ×8, first 2 shown]
	v_fma_f64 v[58:59], v[44:45], s[14:15], -v[58:59]
	v_fma_f64 v[140:141], v[44:45], s[0:1], v[60:61]
	v_fma_f64 v[60:61], v[44:45], s[0:1], -v[60:61]
	v_fma_f64 v[142:143], v[44:45], s[16:17], v[81:82]
	;; [unrolled: 2-line block ×5, first 2 shown]
	v_fma_f64 v[98:99], v[44:45], s[28:29], -v[98:99]
	v_mov_b32_e32 v70, v90
	s_mov_b32 s53, 0x3fe0d888
	s_mov_b32 s51, 0x3feec746
	;; [unrolled: 1-line block ×6, first 2 shown]
	v_mov_b32_e32 v71, v91
	s_mov_b32 s47, 0x3fd71e95
	s_mov_b32 s46, s26
	;; [unrolled: 1-line block ×6, first 2 shown]
	v_mov_b32_e32 v0, v42
	v_mov_b32_e32 v1, v43
	v_add_f64 v[42:43], v[0:1], v[122:123]
	s_waitcnt vmcnt(2)
	v_add_f64 v[50:51], v[50:51], -v[150:151]
	v_fma_f64 v[122:123], v[44:45], s[8:9], v[52:53]
	v_fma_f64 v[52:53], v[44:45], s[8:9], -v[52:53]
	v_fma_f64 v[150:151], v[44:45], s[34:35], v[46:47]
	v_fma_f64 v[44:45], v[44:45], s[34:35], -v[46:47]
	v_add_f64 v[124:125], v[0:1], v[124:125]
	v_add_f64 v[58:59], v[0:1], v[58:59]
	;; [unrolled: 1-line block ×4, first 2 shown]
	v_mul_f64 v[100:101], v[50:51], s[40:41]
	v_mul_f64 v[102:103], v[50:51], s[36:37]
	v_add_f64 v[122:123], v[0:1], v[122:123]
	v_add_f64 v[52:53], v[0:1], v[52:53]
	;; [unrolled: 1-line block ×6, first 2 shown]
	v_fma_f64 v[46:47], v[48:49], s[14:15], v[100:101]
	v_fma_f64 v[100:101], v[48:49], s[14:15], -v[100:101]
	v_fma_f64 v[152:153], v[48:49], s[16:17], v[102:103]
	v_add_f64 v[81:82], v[0:1], v[81:82]
	v_add_f64 v[144:145], v[0:1], v[144:145]
	;; [unrolled: 1-line block ×14, first 2 shown]
	v_mov_b32_e32 v125, v89
	v_mov_b32_e32 v124, v88
	v_mul_f64 v[108:109], v[50:51], s[38:39]
	v_mul_f64 v[106:107], v[50:51], s[24:25]
	v_mov_b32_e32 v90, v110
	v_add_f64 v[42:43], v[42:43], v[252:253]
	v_mov_b32_e32 v91, v111
	v_mul_f64 v[110:111], v[50:51], s[52:53]
	v_mul_f64 v[118:119], v[50:51], s[50:51]
	;; [unrolled: 1-line block ×3, first 2 shown]
	v_fma_f64 v[156:157], v[48:49], s[34:35], v[108:109]
	v_fma_f64 v[108:109], v[48:49], s[34:35], -v[108:109]
	v_fma_f64 v[154:155], v[48:49], s[22:23], v[106:107]
	s_waitcnt vmcnt(0)
	v_add_f64 v[42:43], v[42:43], v[160:161]
	v_fma_f64 v[106:107], v[48:49], s[22:23], -v[106:107]
	v_fma_f64 v[158:159], v[48:49], s[28:29], v[110:111]
	v_mul_f64 v[50:51], v[50:51], s[46:47]
	v_fma_f64 v[102:103], v[48:49], s[16:17], -v[102:103]
	v_add_f64 v[100:101], v[156:157], v[142:143]
	v_add_f64 v[81:82], v[108:109], v[81:82]
	;; [unrolled: 1-line block ×4, first 2 shown]
	v_fma_f64 v[106:107], v[48:49], s[28:29], -v[110:111]
	v_fma_f64 v[110:111], v[48:49], s[18:19], v[118:119]
	v_add_f64 v[58:59], v[102:103], v[58:59]
	v_add_f64 v[102:103], v[158:159], v[144:145]
	;; [unrolled: 1-line block ×8, first 2 shown]
	buffer_load_dword v88, off, s[64:67], 0 offset:80 ; 4-byte Folded Reload
	buffer_load_dword v89, off, s[64:67], 0 offset:84 ; 4-byte Folded Reload
	v_add_f64 v[42:43], v[42:43], v[114:115]
	v_add_f64 v[42:43], v[42:43], v[116:117]
	;; [unrolled: 1-line block ×4, first 2 shown]
	v_mov_b32_e32 v141, v115
	v_mov_b32_e32 v140, v114
	v_fma_f64 v[114:115], v[48:49], s[18:19], -v[118:119]
	v_fma_f64 v[118:119], v[48:49], s[0:1], -v[120:121]
	v_add_f64 v[42:43], v[42:43], v[246:247]
	v_add_f64 v[96:97], v[114:115], v[96:97]
	v_fma_f64 v[114:115], v[48:49], s[8:9], v[50:51]
	v_add_f64 v[98:99], v[118:119], v[98:99]
	v_add_f64 v[114:115], v[114:115], v[150:151]
	s_waitcnt vmcnt(0)
	v_add_f64 v[108:109], v[88:89], -v[112:113]
	v_mov_b32_e32 v112, v116
	v_mov_b32_e32 v113, v117
	;; [unrolled: 1-line block ×3, first 2 shown]
	v_fma_f64 v[116:117], v[48:49], s[0:1], v[120:121]
	v_mov_b32_e32 v89, v105
	v_add_f64 v[104:105], v[94:95], v[112:113]
	v_fma_f64 v[48:49], v[48:49], s[8:9], -v[50:51]
	v_mul_f64 v[112:113], v[108:109], s[44:45]
	v_mul_f64 v[118:119], v[108:109], s[48:49]
	s_mov_b32 s49, 0x3fe58eea
	s_mov_b32 s48, s40
	v_add_f64 v[110:111], v[116:117], v[148:149]
	v_mul_f64 v[116:117], v[108:109], s[24:25]
	v_mul_f64 v[122:123], v[108:109], s[48:49]
	v_add_f64 v[0:1], v[48:49], v[0:1]
	v_fma_f64 v[50:51], v[104:105], s[0:1], v[112:113]
	v_fma_f64 v[48:49], v[104:105], s[0:1], -v[112:113]
	v_mul_f64 v[112:113], v[108:109], s[50:51]
	v_fma_f64 v[120:121], v[104:105], s[34:35], v[118:119]
	v_add_f64 v[94:95], v[90:91], v[140:141]
	v_add_f64 v[88:89], v[88:89], v[124:125]
	;; [unrolled: 1-line block ×3, first 2 shown]
	v_fma_f64 v[50:51], v[104:105], s[22:23], v[116:117]
	v_fma_f64 v[116:117], v[104:105], s[22:23], -v[116:117]
	v_add_f64 v[46:47], v[48:49], v[46:47]
	v_fma_f64 v[48:49], v[104:105], s[34:35], -v[118:119]
	v_fma_f64 v[118:119], v[104:105], s[18:19], v[112:113]
	v_add_f64 v[70:71], v[120:121], v[70:71]
	v_mov_b32_e32 v120, v83
	v_add_f64 v[50:51], v[50:51], v[52:53]
	v_add_f64 v[52:53], v[116:117], v[58:59]
	v_fma_f64 v[58:59], v[104:105], s[18:19], -v[112:113]
	v_fma_f64 v[112:113], v[104:105], s[14:15], v[122:123]
	v_mul_f64 v[116:117], v[108:109], s[26:27]
	v_add_f64 v[48:49], v[48:49], v[60:61]
	v_add_f64 v[60:61], v[118:119], v[100:101]
	v_mul_f64 v[100:101], v[108:109], s[36:37]
	v_fma_f64 v[118:119], v[104:105], s[14:15], -v[122:123]
	v_mov_b32_e32 v122, v85
	v_add_f64 v[58:59], v[58:59], v[81:82]
	buffer_load_dword v81, off, s[64:67], 0 offset:72 ; 4-byte Folded Reload
	buffer_load_dword v82, off, s[64:67], 0 offset:76 ; 4-byte Folded Reload
	v_mov_b32_e32 v121, v84
	v_add_f64 v[83:84], v[112:113], v[102:103]
	v_fma_f64 v[102:103], v[104:105], s[8:9], v[116:117]
	v_fma_f64 v[112:113], v[104:105], s[8:9], -v[116:117]
	v_fma_f64 v[116:117], v[104:105], s[16:17], v[100:101]
	v_add_f64 v[92:93], v[118:119], v[92:93]
	v_fma_f64 v[100:101], v[104:105], s[16:17], -v[100:101]
	v_mul_f64 v[108:109], v[108:109], s[30:31]
	v_add_f64 v[102:103], v[102:103], v[106:107]
	v_add_f64 v[96:97], v[112:113], v[96:97]
	;; [unrolled: 1-line block ×4, first 2 shown]
	v_fma_f64 v[106:107], v[104:105], s[28:29], v[108:109]
	v_fma_f64 v[104:105], v[104:105], s[28:29], -v[108:109]
	v_add_f64 v[106:107], v[106:107], v[114:115]
	v_add_f64 v[0:1], v[104:105], v[0:1]
	s_waitcnt vmcnt(0)
	v_add_f64 v[81:82], v[81:82], -v[138:139]
	v_mul_f64 v[118:119], v[81:82], s[36:37]
	v_mul_f64 v[100:101], v[81:82], s[50:51]
	;; [unrolled: 1-line block ×4, first 2 shown]
	v_fma_f64 v[112:113], v[94:95], s[16:17], v[118:119]
	v_fma_f64 v[114:115], v[94:95], s[16:17], -v[118:119]
	v_mul_f64 v[118:119], v[81:82], s[44:45]
	v_fma_f64 v[104:105], v[94:95], s[34:35], v[108:109]
	v_fma_f64 v[108:109], v[94:95], s[34:35], -v[108:109]
	v_add_f64 v[44:45], v[112:113], v[44:45]
	v_fma_f64 v[112:113], v[94:95], s[18:19], v[100:101]
	v_fma_f64 v[100:101], v[94:95], s[18:19], -v[100:101]
	v_add_f64 v[46:47], v[114:115], v[46:47]
	v_fma_f64 v[114:115], v[94:95], s[8:9], v[116:117]
	v_add_f64 v[50:51], v[104:105], v[50:51]
	v_mul_f64 v[104:105], v[81:82], s[30:31]
	v_add_f64 v[52:53], v[108:109], v[52:53]
	v_fma_f64 v[108:109], v[94:95], s[0:1], v[118:119]
	v_add_f64 v[70:71], v[112:113], v[70:71]
	v_add_f64 v[48:49], v[100:101], v[48:49]
	v_fma_f64 v[100:101], v[94:95], s[8:9], -v[116:117]
	v_mul_f64 v[116:117], v[81:82], s[54:55]
	v_add_f64 v[60:61], v[114:115], v[60:61]
	v_fma_f64 v[114:115], v[94:95], s[28:29], v[104:105]
	v_fma_f64 v[112:113], v[94:95], s[0:1], -v[118:119]
	v_add_f64 v[83:84], v[108:109], v[83:84]
	v_mul_f64 v[81:82], v[81:82], s[48:49]
	v_add_f64 v[58:59], v[100:101], v[58:59]
	buffer_load_dword v90, off, s[64:67], 0 offset:64 ; 4-byte Folded Reload
	buffer_load_dword v91, off, s[64:67], 0 offset:68 ; 4-byte Folded Reload
	;; [unrolled: 1-line block ×4, first 2 shown]
	v_fma_f64 v[108:109], v[94:95], s[22:23], -v[116:117]
	v_add_f64 v[102:103], v[114:115], v[102:103]
	v_add_f64 v[92:93], v[112:113], v[92:93]
	v_fma_f64 v[112:113], v[94:95], s[14:15], v[81:82]
	v_fma_f64 v[81:82], v[94:95], s[14:15], -v[81:82]
	v_add_f64 v[98:99], v[108:109], v[98:99]
	v_add_f64 v[106:107], v[112:113], v[106:107]
	;; [unrolled: 1-line block ×3, first 2 shown]
	s_waitcnt vmcnt(0)
	v_add_f64 v[90:91], v[90:91], -v[100:101]
	v_fma_f64 v[100:101], v[94:95], s[28:29], -v[104:105]
	v_fma_f64 v[104:105], v[94:95], s[22:23], v[116:117]
	v_mov_b32_e32 v117, v87
	v_mov_b32_e32 v116, v86
	buffer_load_dword v85, off, s[64:67], 0 offset:48 ; 4-byte Folded Reload
	buffer_load_dword v86, off, s[64:67], 0 offset:52 ; 4-byte Folded Reload
	v_mul_f64 v[114:115], v[90:91], s[20:21]
	v_add_f64 v[94:95], v[100:101], v[96:97]
	v_mul_f64 v[96:97], v[90:91], s[52:53]
	v_add_f64 v[100:101], v[104:105], v[110:111]
	v_mul_f64 v[104:105], v[90:91], s[48:49]
	v_fma_f64 v[108:109], v[88:89], s[18:19], v[114:115]
	v_fma_f64 v[81:82], v[88:89], s[18:19], -v[114:115]
	v_mul_f64 v[114:115], v[90:91], s[44:45]
	v_fma_f64 v[110:111], v[88:89], s[28:29], v[96:97]
	v_fma_f64 v[112:113], v[88:89], s[14:15], v[104:105]
	v_fma_f64 v[104:105], v[88:89], s[14:15], -v[104:105]
	s_mov_b32 s45, 0x3fefdd0d
	s_mov_b32 s44, s36
	v_add_f64 v[44:45], v[108:109], v[44:45]
	v_mul_f64 v[108:109], v[90:91], s[38:39]
	v_add_f64 v[46:47], v[81:82], v[46:47]
	v_fma_f64 v[81:82], v[88:89], s[0:1], v[114:115]
	v_fma_f64 v[96:97], v[88:89], s[28:29], -v[96:97]
	v_add_f64 v[50:51], v[110:111], v[50:51]
	v_add_f64 v[48:49], v[104:105], v[48:49]
	v_mul_f64 v[110:111], v[90:91], s[44:45]
	v_add_f64 v[70:71], v[112:113], v[70:71]
	v_fma_f64 v[104:105], v[88:89], s[34:35], v[108:109]
	v_fma_f64 v[108:109], v[88:89], s[34:35], -v[108:109]
	v_add_f64 v[60:61], v[81:82], v[60:61]
	v_mul_f64 v[81:82], v[90:91], s[26:27]
	v_add_f64 v[52:53], v[96:97], v[52:53]
	v_fma_f64 v[96:97], v[88:89], s[0:1], -v[114:115]
	v_mul_f64 v[90:91], v[90:91], s[24:25]
	v_add_f64 v[83:84], v[104:105], v[83:84]
	v_add_f64 v[92:93], v[108:109], v[92:93]
	v_fma_f64 v[104:105], v[88:89], s[16:17], -v[110:111]
	v_fma_f64 v[108:109], v[88:89], s[8:9], v[81:82]
	v_fma_f64 v[81:82], v[88:89], s[8:9], -v[81:82]
	v_add_f64 v[58:59], v[96:97], v[58:59]
	v_fma_f64 v[96:97], v[88:89], s[16:17], v[110:111]
	v_add_f64 v[110:111], v[252:253], v[121:122]
	v_fma_f64 v[114:115], v[88:89], s[22:23], v[90:91]
	v_fma_f64 v[87:88], v[88:89], s[22:23], -v[90:91]
	v_add_f64 v[89:90], v[104:105], v[94:95]
	v_add_f64 v[94:95], v[108:109], v[100:101]
	;; [unrolled: 1-line block ×6, first 2 shown]
	s_waitcnt vmcnt(0)
	v_add_f64 v[85:86], v[85:86], -v[224:225]
	v_mul_f64 v[100:101], v[85:86], s[50:51]
	v_mul_f64 v[106:107], v[85:86], s[30:31]
	;; [unrolled: 1-line block ×4, first 2 shown]
	v_fma_f64 v[108:109], v[110:111], s[18:19], v[100:101]
	v_fma_f64 v[100:101], v[110:111], s[18:19], -v[100:101]
	v_fma_f64 v[98:99], v[110:111], s[22:23], v[112:113]
	v_fma_f64 v[87:88], v[110:111], s[22:23], -v[112:113]
	;; [unrolled: 2-line block ×3, first 2 shown]
	v_add_f64 v[50:51], v[108:109], v[50:51]
	v_add_f64 v[52:53], v[100:101], v[52:53]
	v_fma_f64 v[100:101], v[110:111], s[28:29], -v[106:107]
	v_add_f64 v[44:45], v[98:99], v[44:45]
	v_mul_f64 v[98:99], v[85:86], s[44:45]
	v_add_f64 v[46:47], v[87:88], v[46:47]
	v_fma_f64 v[87:88], v[110:111], s[28:29], v[106:107]
	v_add_f64 v[70:71], v[112:113], v[70:71]
	v_add_f64 v[48:49], v[104:105], v[48:49]
	v_mul_f64 v[104:105], v[85:86], s[40:41]
	v_add_f64 v[58:59], v[100:101], v[58:59]
	buffer_load_dword v100, off, s[64:67], 0 offset:56 ; 4-byte Folded Reload
	buffer_load_dword v101, off, s[64:67], 0 offset:60 ; 4-byte Folded Reload
	v_fma_f64 v[106:107], v[110:111], s[16:17], v[98:99]
	v_add_f64 v[108:109], v[160:161], v[116:117]
	v_add_f64 v[60:61], v[87:88], v[60:61]
	v_fma_f64 v[87:88], v[110:111], s[16:17], -v[98:99]
	v_mul_f64 v[98:99], v[85:86], s[38:39]
	v_mul_f64 v[85:86], v[85:86], s[42:43]
	v_add_f64 v[83:84], v[106:107], v[83:84]
	v_fma_f64 v[106:107], v[110:111], s[14:15], v[104:105]
	v_fma_f64 v[104:105], v[110:111], s[14:15], -v[104:105]
	v_add_f64 v[87:88], v[87:88], v[92:93]
	v_fma_f64 v[91:92], v[110:111], s[34:35], v[98:99]
	v_fma_f64 v[98:99], v[110:111], s[34:35], -v[98:99]
	v_fma_f64 v[114:115], v[110:111], s[0:1], v[85:86]
	v_fma_f64 v[85:86], v[110:111], s[0:1], -v[85:86]
	v_add_f64 v[96:97], v[106:107], v[96:97]
	v_add_f64 v[89:90], v[104:105], v[89:90]
	;; [unrolled: 1-line block ×6, first 2 shown]
	s_waitcnt vmcnt(0)
	v_add_f64 v[100:101], v[250:251], -v[100:101]
	v_mul_f64 v[112:113], v[100:101], s[30:31]
	v_mul_f64 v[93:94], v[100:101], s[42:43]
	;; [unrolled: 1-line block ×4, first 2 shown]
	v_fma_f64 v[98:99], v[108:109], s[28:29], v[112:113]
	v_fma_f64 v[106:107], v[108:109], s[28:29], -v[112:113]
	v_fma_f64 v[110:111], v[108:109], s[0:1], v[93:94]
	v_fma_f64 v[93:94], v[108:109], s[0:1], -v[93:94]
	;; [unrolled: 2-line block ×3, first 2 shown]
	v_add_f64 v[44:45], v[98:99], v[44:45]
	v_mul_f64 v[98:99], v[100:101], s[26:27]
	v_add_f64 v[46:47], v[106:107], v[46:47]
	v_fma_f64 v[106:107], v[108:109], s[22:23], v[85:86]
	v_add_f64 v[52:53], v[93:94], v[52:53]
	v_fma_f64 v[85:86], v[108:109], s[22:23], -v[85:86]
	v_add_f64 v[50:51], v[110:111], v[50:51]
	v_mul_f64 v[110:111], v[100:101], s[38:39]
	v_add_f64 v[48:49], v[104:105], v[48:49]
	v_fma_f64 v[93:94], v[108:109], s[8:9], v[98:99]
	v_fma_f64 v[98:99], v[108:109], s[8:9], -v[98:99]
	v_mul_f64 v[104:105], v[100:101], s[48:49]
	v_add_f64 v[70:71], v[112:113], v[70:71]
	v_add_f64 v[58:59], v[85:86], v[58:59]
	v_add_f64 v[60:61], v[106:107], v[60:61]
	v_fma_f64 v[106:107], v[108:109], s[34:35], -v[110:111]
	v_mul_f64 v[100:101], v[100:101], s[20:21]
	v_add_f64 v[83:84], v[93:94], v[83:84]
	buffer_load_dword v85, off, s[64:67], 0 offset:244 ; 4-byte Folded Reload
	buffer_load_dword v86, off, s[64:67], 0 offset:248 ; 4-byte Folded Reload
	;; [unrolled: 1-line block ×4, first 2 shown]
	v_add_f64 v[87:88], v[98:99], v[87:88]
	v_fma_f64 v[98:99], v[108:109], s[14:15], v[104:105]
	v_fma_f64 v[104:105], v[108:109], s[14:15], -v[104:105]
	v_add_f64 v[89:90], v[106:107], v[89:90]
	v_add_f64 v[91:92], v[98:99], v[91:92]
	;; [unrolled: 1-line block ×3, first 2 shown]
	s_waitcnt vmcnt(0)
	v_add_f64 v[85:86], v[85:86], -v[93:94]
	v_fma_f64 v[93:94], v[108:109], s[34:35], v[110:111]
	v_add_f64 v[110:111], v[222:223], v[186:187]
	v_mul_f64 v[112:113], v[85:86], s[38:39]
	v_add_f64 v[93:94], v[93:94], v[96:97]
	v_fma_f64 v[95:96], v[108:109], s[18:19], v[100:101]
	v_mul_f64 v[106:107], v[85:86], s[46:47]
	v_fma_f64 v[97:98], v[108:109], s[18:19], -v[100:101]
	v_mul_f64 v[104:105], v[85:86], s[30:31]
	v_fma_f64 v[99:100], v[110:111], s[34:35], v[112:113]
	v_fma_f64 v[108:109], v[110:111], s[34:35], -v[112:113]
	v_add_f64 v[95:96], v[95:96], v[102:103]
	v_fma_f64 v[101:102], v[110:111], s[8:9], v[106:107]
	v_mul_f64 v[112:113], v[85:86], s[48:49]
	v_fma_f64 v[106:107], v[110:111], s[8:9], -v[106:107]
	v_add_f64 v[0:1], v[97:98], v[0:1]
	v_fma_f64 v[97:98], v[110:111], s[28:29], v[104:105]
	v_add_f64 v[44:45], v[99:100], v[44:45]
	v_fma_f64 v[99:100], v[110:111], s[28:29], -v[104:105]
	v_add_f64 v[46:47], v[108:109], v[46:47]
	v_add_f64 v[50:51], v[101:102], v[50:51]
	v_fma_f64 v[101:102], v[110:111], s[14:15], v[112:113]
	v_add_f64 v[52:53], v[106:107], v[52:53]
	v_fma_f64 v[103:104], v[110:111], s[14:15], -v[112:113]
	v_mul_f64 v[105:106], v[85:86], s[24:25]
	v_add_f64 v[70:71], v[97:98], v[70:71]
	v_mul_f64 v[97:98], v[85:86], s[42:43]
	v_add_f64 v[48:49], v[99:100], v[48:49]
	v_mul_f64 v[99:100], v[85:86], s[20:21]
	v_mul_f64 v[85:86], v[85:86], s[44:45]
	v_add_f64 v[60:61], v[101:102], v[60:61]
	v_add_f64 v[58:59], v[103:104], v[58:59]
	v_fma_f64 v[101:102], v[110:111], s[22:23], v[105:106]
	v_fma_f64 v[103:104], v[110:111], s[22:23], -v[105:106]
	v_fma_f64 v[105:106], v[110:111], s[0:1], v[97:98]
	v_fma_f64 v[97:98], v[110:111], s[0:1], -v[97:98]
	v_fma_f64 v[107:108], v[110:111], s[18:19], v[99:100]
	v_fma_f64 v[112:113], v[110:111], s[16:17], v[85:86]
	v_fma_f64 v[85:86], v[110:111], s[16:17], -v[85:86]
	v_fma_f64 v[99:100], v[110:111], s[18:19], -v[99:100]
	v_add_f64 v[83:84], v[101:102], v[83:84]
	v_add_f64 v[87:88], v[103:104], v[87:88]
	;; [unrolled: 1-line block ×8, first 2 shown]
	v_mov_b32_e32 v85, 3
	v_lshlrev_b32_sdwa v85, v85, v190 dst_sel:DWORD dst_unused:UNUSED_PAD src0_sel:DWORD src1_sel:BYTE_0
	v_add3_u32 v85, 0, v85, v120
	v_add_u32_e32 v86, 0x800, v85
	ds_write2_b64 v86, v[42:43], v[44:45] offset0:220 offset1:227
	ds_write2_b64 v86, v[50:51], v[70:71] offset0:234 offset1:241
	;; [unrolled: 1-line block ×3, first 2 shown]
	v_add_u32_e32 v42, 0x1000, v85
	ds_write2_b64 v42, v[93:94], v[91:92] offset0:6 offset1:13
	ds_write2_b64 v42, v[95:96], v[0:1] offset0:20 offset1:27
	;; [unrolled: 1-line block ×5, first 2 shown]
	ds_write_b64 v85, v[46:47] offset:4704
.LBB0_20:
	s_or_b64 exec, exec, s[6:7]
	s_waitcnt lgkmcnt(0)
	; wave barrier
	s_waitcnt lgkmcnt(0)
	s_mov_b64 s[0:1], exec
	buffer_load_dword v176, off, s[64:67], 0 offset:224 ; 4-byte Folded Reload
	s_and_b64 s[0:1], s[0:1], vcc
	s_mov_b64 exec, s[0:1]
	s_cbranch_execz .LBB0_22
; %bb.21:
	v_lshlrev_b32_e32 v114, 2, v234
	v_add_u32_e32 v117, 0x198, v114
	v_mov_b32_e32 v118, 0
	v_lshlrev_b64 v[0:1], 4, v[117:118]
	v_mov_b32_e32 v119, s13
	v_add_co_u32_e32 v0, vcc, s12, v0
	v_addc_co_u32_e32 v1, vcc, v119, v1, vcc
	global_load_dwordx4 v[42:45], v[0:1], off offset:1840
	global_load_dwordx4 v[46:49], v[0:1], off offset:1824
	;; [unrolled: 1-line block ×4, first 2 shown]
	v_add_u32_e32 v117, 0x154, v114
	v_lshlrev_b64 v[0:1], 4, v[117:118]
	v_mul_lo_u32 v70, s5, v232
	v_add_co_u32_e32 v0, vcc, s12, v0
	v_addc_co_u32_e32 v1, vcc, v119, v1, vcc
	global_load_dwordx4 v[81:84], v[0:1], off offset:1808
	global_load_dwordx4 v[85:88], v[0:1], off offset:1792
	;; [unrolled: 1-line block ×4, first 2 shown]
	v_mul_lo_u32 v71, s4, v233
	v_mad_u64_u32 v[0:1], s[0:1], s4, v232, 0
	v_add_u32_e32 v122, 0x800, v237
	ds_read2_b64 v[94:97], v237 offset0:221 offset1:238
	v_add_u32_e32 v125, 0x1000, v237
	ds_read2_b64 v[106:109], v237 offset0:85 offset1:102
	ds_read2_b64 v[110:113], v237 offset0:187 offset1:204
	;; [unrolled: 1-line block ×5, first 2 shown]
	v_lshlrev_b32_e32 v117, 2, v172
	v_add3_u32 v1, v1, v71, v70
	v_lshlrev_b64 v[70:71], 4, v[117:118]
	ds_read2_b64 v[146:149], v122 offset0:169 offset1:186
	v_add_co_u32_e32 v70, vcc, s12, v70
	v_addc_co_u32_e32 v71, vcc, v119, v71, vcc
	global_load_dwordx4 v[150:153], v[70:71], off offset:1840
	global_load_dwordx4 v[154:157], v[70:71], off offset:1824
	;; [unrolled: 1-line block ×4, first 2 shown]
	s_mov_b32 s14, 0x134454ff
	s_mov_b32 s15, 0xbfee6f0e
	;; [unrolled: 1-line block ×10, first 2 shown]
	v_lshlrev_b32_e32 v117, 2, v191
	v_lshlrev_b64 v[0:1], 4, v[0:1]
	s_waitcnt vmcnt(11)
	v_mul_f64 v[123:124], v[36:37], v[44:45]
	s_waitcnt vmcnt(10)
	v_mul_f64 v[120:121], v[6:7], v[48:49]
	;; [unrolled: 2-line block ×4, first 2 shown]
	s_waitcnt lgkmcnt(6)
	v_mul_f64 v[60:61], v[94:95], v[60:61]
	s_waitcnt lgkmcnt(1)
	v_mul_f64 v[44:45], v[144:145], v[44:45]
	v_mul_f64 v[52:53], v[140:141], v[52:53]
	;; [unrolled: 1-line block ×3, first 2 shown]
	s_waitcnt vmcnt(7)
	v_mul_f64 v[166:167], v[38:39], v[83:84]
	s_waitcnt vmcnt(6)
	v_mul_f64 v[168:169], v[56:57], v[87:88]
	v_mul_f64 v[83:84], v[138:139], v[83:84]
	s_waitcnt vmcnt(4)
	v_mul_f64 v[172:173], v[34:35], v[104:105]
	v_fma_f64 v[70:71], v[140:141], v[50:51], v[70:71]
	v_fma_f64 v[93:94], v[94:95], v[58:59], v[115:116]
	;; [unrolled: 1-line block ×4, first 2 shown]
	v_fma_f64 v[10:11], v[10:11], v[58:59], -v[60:61]
	v_fma_f64 v[58:59], v[36:37], v[42:43], -v[44:45]
	v_mul_f64 v[170:171], v[74:75], v[91:92]
	v_mul_f64 v[87:88], v[112:113], v[87:88]
	;; [unrolled: 1-line block ×3, first 2 shown]
	s_waitcnt lgkmcnt(0)
	v_mul_f64 v[91:92], v[148:149], v[91:92]
	v_fma_f64 v[50:51], v[40:41], v[50:51], -v[52:53]
	v_fma_f64 v[6:7], v[6:7], v[46:47], -v[48:49]
	v_fma_f64 v[60:61], v[112:113], v[85:86], v[168:169]
	v_fma_f64 v[112:113], v[142:143], v[102:103], v[172:173]
	v_fma_f64 v[120:121], v[38:39], v[81:82], -v[83:84]
	v_add_f64 v[36:37], v[70:71], -v[93:94]
	v_add_f64 v[38:39], v[98:99], -v[115:116]
	v_add_f64 v[42:43], v[93:94], v[115:116]
	v_add_f64 v[46:47], v[93:94], -v[70:71]
	v_add_f64 v[48:49], v[115:116], -v[98:99]
	v_add_f64 v[52:53], v[70:71], v[98:99]
	v_add_f64 v[142:143], v[10:11], v[58:59]
	v_fma_f64 v[123:124], v[74:75], v[89:90], -v[91:92]
	v_add_f64 v[40:41], v[10:11], -v[58:59]
	v_add_f64 v[44:45], v[50:51], -v[6:7]
	v_add_f64 v[74:75], v[93:94], v[108:109]
	v_add_f64 v[83:84], v[50:51], -v[10:11]
	v_add_f64 v[91:92], v[6:7], -v[58:59]
	;; [unrolled: 1-line block ×3, first 2 shown]
	v_add_f64 v[36:37], v[36:37], v[38:39]
	v_fma_f64 v[38:39], v[42:43], -0.5, v[108:109]
	v_add_f64 v[42:43], v[46:47], v[48:49]
	v_fma_f64 v[46:47], v[52:53], -0.5, v[108:109]
	v_fma_f64 v[52:53], v[142:143], -0.5, v[78:79]
	v_add_f64 v[93:94], v[93:94], -v[115:116]
	v_add_f64 v[144:145], v[10:11], -v[50:51]
	;; [unrolled: 1-line block ×3, first 2 shown]
	v_add_f64 v[172:173], v[50:51], v[6:7]
	v_add_f64 v[48:49], v[70:71], v[74:75]
	;; [unrolled: 1-line block ×3, first 2 shown]
	v_fma_f64 v[91:92], v[44:45], s[14:15], v[38:39]
	v_fma_f64 v[38:39], v[44:45], s[8:9], v[38:39]
	v_fma_f64 v[108:109], v[40:41], s[8:9], v[46:47]
	v_fma_f64 v[46:47], v[40:41], s[14:15], v[46:47]
	v_fma_f64 v[142:143], v[140:141], s[8:9], v[52:53]
	v_fma_f64 v[52:53], v[140:141], s[14:15], v[52:53]
	v_add_f64 v[74:75], v[144:145], v[168:169]
	v_fma_f64 v[83:84], v[172:173], -0.5, v[78:79]
	v_add_f64 v[48:49], v[98:99], v[48:49]
	v_fma_f64 v[91:92], v[40:41], s[4:5], v[91:92]
	v_fma_f64 v[38:39], v[40:41], s[6:7], v[38:39]
	;; [unrolled: 1-line block ×6, first 2 shown]
	v_add_f64 v[174:175], v[60:61], v[112:113]
	v_fma_f64 v[98:99], v[93:94], s[14:15], v[83:84]
	v_fma_f64 v[83:84], v[93:94], s[8:9], v[83:84]
	v_add_f64 v[52:53], v[115:116], v[48:49]
	v_fma_f64 v[40:41], v[36:37], s[0:1], v[91:92]
	v_fma_f64 v[44:45], v[36:37], s[0:1], v[38:39]
	;; [unrolled: 1-line block ×6, first 2 shown]
	v_add_f64 v[10:11], v[78:79], v[10:11]
	v_fma_f64 v[70:71], v[138:139], v[81:82], v[166:167]
	v_fma_f64 v[78:79], v[148:149], v[89:90], v[170:171]
	v_fma_f64 v[81:82], v[56:57], v[85:86], -v[87:88]
	v_fma_f64 v[92:93], v[34:35], v[102:103], -v[104:105]
	v_fma_f64 v[46:47], v[174:175], -0.5, v[106:107]
	v_add_f64 v[56:57], v[120:121], -v[123:124]
	v_fma_f64 v[34:35], v[140:141], s[6:7], v[98:99]
	v_fma_f64 v[83:84], v[140:141], s[4:5], v[83:84]
	v_add_f64 v[10:11], v[50:51], v[10:11]
	v_add_f64 v[50:51], v[70:71], -v[60:61]
	v_add_f64 v[85:86], v[78:79], -v[112:113]
	v_add_f64 v[89:90], v[70:71], v[78:79]
	v_add_f64 v[87:88], v[81:82], -v[92:93]
	v_fma_f64 v[94:95], v[56:57], s[14:15], v[46:47]
	v_fma_f64 v[34:35], v[74:75], s[0:1], v[34:35]
	;; [unrolled: 1-line block ×4, first 2 shown]
	v_add_f64 v[74:75], v[81:82], v[92:93]
	v_add_f64 v[6:7], v[10:11], v[6:7]
	;; [unrolled: 1-line block ×3, first 2 shown]
	v_fma_f64 v[50:51], v[89:90], -0.5, v[106:107]
	v_add_f64 v[102:103], v[112:113], -v[78:79]
	v_add_f64 v[85:86], v[60:61], v[106:107]
	v_fma_f64 v[89:90], v[87:88], s[6:7], v[98:99]
	v_fma_f64 v[83:84], v[87:88], s[4:5], v[94:95]
	v_fma_f64 v[98:99], v[74:75], -0.5, v[76:77]
	v_add_f64 v[74:75], v[60:61], -v[70:71]
	v_add_f64 v[94:95], v[70:71], -v[78:79]
	v_fma_f64 v[104:105], v[87:88], s[8:9], v[50:51]
	v_fma_f64 v[50:51], v[87:88], s[14:15], v[50:51]
	v_add_f64 v[70:71], v[70:71], v[85:86]
	v_add_f64 v[85:86], v[120:121], -v[81:82]
	v_add_f64 v[87:88], v[123:124], -v[92:93]
	;; [unrolled: 1-line block ×3, first 2 shown]
	v_add_f64 v[74:75], v[74:75], v[102:103]
	v_fma_f64 v[106:107], v[94:95], s[8:9], v[98:99]
	v_fma_f64 v[102:103], v[56:57], s[4:5], v[104:105]
	;; [unrolled: 1-line block ×3, first 2 shown]
	v_add_f64 v[78:79], v[78:79], v[70:71]
	v_add_f64 v[50:51], v[6:7], v[58:59]
	v_fma_f64 v[60:61], v[10:11], s[0:1], v[83:84]
	v_add_f64 v[6:7], v[85:86], v[87:88]
	v_fma_f64 v[70:71], v[10:11], s[0:1], v[89:90]
	ds_read2_b64 v[84:87], v125 offset0:15 offset1:32
	ds_read2_b64 v[88:91], v122 offset0:33 offset1:50
	v_fma_f64 v[56:57], v[74:75], s[0:1], v[102:103]
	s_waitcnt vmcnt(0)
	v_mul_f64 v[102:103], v[54:55], v[164:165]
	v_fma_f64 v[74:75], v[74:75], s[0:1], v[104:105]
	v_mul_f64 v[104:105], v[64:65], v[152:153]
	v_fma_f64 v[58:59], v[115:116], s[6:7], v[106:107]
	v_add_f64 v[78:79], v[112:113], v[78:79]
	v_add_f64 v[10:11], v[120:121], v[123:124]
	s_waitcnt lgkmcnt(0)
	v_mul_f64 v[112:113], v[90:91], v[160:161]
	v_mul_f64 v[168:169], v[146:147], v[156:157]
	v_fma_f64 v[144:145], v[110:111], v[162:163], v[102:103]
	v_lshlrev_b64 v[102:103], 4, v[117:118]
	v_fma_f64 v[148:149], v[86:87], v[150:151], v[104:105]
	v_add_co_u32_e32 v166, vcc, s12, v102
	v_addc_co_u32_e32 v167, vcc, v119, v103, vcc
	global_load_dwordx4 v[102:105], v[166:167], off offset:1808
	global_load_dwordx4 v[106:109], v[166:167], off offset:1792
	;; [unrolled: 1-line block ×3, first 2 shown]
	v_mul_f64 v[160:161], v[68:69], v[160:161]
	v_add_f64 v[142:143], v[81:82], -v[120:121]
	v_fma_f64 v[10:11], v[10:11], -0.5, v[76:77]
	v_add_f64 v[76:77], v[76:77], v[81:82]
	v_mul_f64 v[81:82], v[72:73], v[156:157]
	v_mul_f64 v[156:157], v[110:111], v[164:165]
	;; [unrolled: 1-line block ×3, first 2 shown]
	v_add_f64 v[152:153], v[144:145], v[148:149]
	v_fma_f64 v[164:165], v[68:69], v[158:159], -v[112:113]
	v_fma_f64 v[168:169], v[72:73], v[154:155], -v[168:169]
	v_fma_f64 v[90:91], v[90:91], v[158:159], v[160:161]
	ds_read_b64 v[158:159], v80
	global_load_dwordx4 v[110:113], v[166:167], off offset:1824
	v_fma_f64 v[80:81], v[146:147], v[154:155], v[81:82]
	v_fma_f64 v[146:147], v[54:55], v[162:163], -v[156:157]
	v_fma_f64 v[166:167], v[64:65], v[150:151], -v[86:87]
	s_waitcnt lgkmcnt(0)
	v_fma_f64 v[54:55], v[152:153], -0.5, v[158:159]
	v_add_f64 v[64:65], v[164:165], -v[168:169]
	v_fma_f64 v[98:99], v[94:95], s[14:15], v[98:99]
	v_add_f64 v[68:69], v[92:93], -v[123:124]
	v_fma_f64 v[72:73], v[115:116], s[14:15], v[10:11]
	v_fma_f64 v[10:11], v[115:116], s[8:9], v[10:11]
	v_add_f64 v[76:77], v[120:121], v[76:77]
	v_add_f64 v[82:83], v[90:91], -v[144:145]
	v_add_f64 v[86:87], v[80:81], -v[148:149]
	;; [unrolled: 1-line block ×3, first 2 shown]
	v_fma_f64 v[150:151], v[64:65], s[14:15], v[54:55]
	v_fma_f64 v[98:99], v[115:116], s[4:5], v[98:99]
	v_add_f64 v[115:116], v[142:143], v[68:69]
	v_fma_f64 v[72:73], v[94:95], s[6:7], v[72:73]
	v_fma_f64 v[10:11], v[94:95], s[4:5], v[10:11]
	v_add_f64 v[76:77], v[76:77], v[123:124]
	v_add_f64 v[86:87], v[82:83], v[86:87]
	v_add_f64 v[82:83], v[90:91], v[80:81]
	v_fma_f64 v[94:95], v[120:121], s[4:5], v[150:151]
	v_fma_f64 v[58:59], v[6:7], s[0:1], v[58:59]
	;; [unrolled: 1-line block ×6, first 2 shown]
	v_add_f64 v[10:11], v[146:147], v[166:167]
	v_add_f64 v[76:77], v[76:77], v[92:93]
	v_fma_f64 v[92:93], v[82:83], -0.5, v[158:159]
	v_fma_f64 v[82:83], v[86:87], s[0:1], v[94:95]
	v_add_f64 v[94:95], v[144:145], v[158:159]
	v_add_f64 v[98:99], v[144:145], -v[90:91]
	v_add_f64 v[115:116], v[90:91], -v[80:81]
	v_fma_f64 v[6:7], v[120:121], s[6:7], v[6:7]
	v_fma_f64 v[10:11], v[10:11], -0.5, v[134:135]
	v_add_f64 v[123:124], v[148:149], -v[80:81]
	v_fma_f64 v[142:143], v[120:121], s[8:9], v[92:93]
	v_fma_f64 v[92:93], v[120:121], s[14:15], v[92:93]
	v_add_f64 v[90:91], v[90:91], v[94:95]
	v_add_f64 v[94:95], v[164:165], v[168:169]
	v_add_f64 v[144:145], v[144:145], -v[148:149]
	v_add_f64 v[120:121], v[164:165], -v[146:147]
	v_fma_f64 v[152:153], v[115:116], s[8:9], v[10:11]
	v_add_f64 v[150:151], v[168:169], -v[166:167]
	v_fma_f64 v[86:87], v[86:87], s[0:1], v[6:7]
	v_add_f64 v[6:7], v[98:99], v[123:124]
	v_fma_f64 v[98:99], v[64:65], s[4:5], v[142:143]
	v_fma_f64 v[94:95], v[94:95], -0.5, v[134:135]
	v_fma_f64 v[92:93], v[64:65], s[6:7], v[92:93]
	v_fma_f64 v[10:11], v[115:116], s[14:15], v[10:11]
	;; [unrolled: 1-line block ×3, first 2 shown]
	v_add_f64 v[120:121], v[120:121], v[150:151]
	v_add_f64 v[142:143], v[146:147], -v[164:165]
	v_add_f64 v[150:151], v[166:167], -v[168:169]
	v_add_f64 v[80:81], v[80:81], v[90:91]
	v_fma_f64 v[152:153], v[144:145], s[14:15], v[94:95]
	v_fma_f64 v[154:155], v[144:145], s[8:9], v[94:95]
	;; [unrolled: 1-line block ×4, first 2 shown]
	v_lshlrev_b32_e32 v117, 2, v192
	v_fma_f64 v[6:7], v[144:145], s[4:5], v[10:11]
	v_add_f64 v[10:11], v[142:143], v[150:151]
	v_lshlrev_b64 v[142:143], 4, v[117:118]
	v_fma_f64 v[92:93], v[115:116], s[6:7], v[152:153]
	v_fma_f64 v[98:99], v[115:116], s[4:5], v[154:155]
	v_add_f64 v[115:116], v[134:135], v[146:147]
	s_waitcnt vmcnt(1)
	v_mul_f64 v[162:163], v[62:63], v[140:141]
	v_add_co_u32_e32 v170, vcc, s12, v142
	v_addc_co_u32_e32 v171, vcc, v119, v143, vcc
	v_add_f64 v[94:95], v[148:149], v[80:81]
	global_load_dwordx4 v[142:145], v[170:171], off offset:1808
	global_load_dwordx4 v[146:149], v[170:171], off offset:1792
	;; [unrolled: 1-line block ×3, first 2 shown]
	v_add_f64 v[115:116], v[164:165], v[115:116]
	v_fma_f64 v[174:175], v[84:85], v[138:139], v[162:163]
	global_load_dwordx4 v[162:165], v[170:171], off offset:1824
	v_fma_f64 v[80:81], v[120:121], s[0:1], v[123:124]
	v_mul_f64 v[123:124], v[66:67], v[104:105]
	v_mul_f64 v[134:135], v[28:29], v[108:109]
	s_waitcnt vmcnt(4)
	v_mul_f64 v[172:173], v[32:33], v[112:113]
	ds_read2_b64 v[154:157], v237 offset0:153 offset1:170
	ds_read2_b64 v[158:161], v122 offset0:135 offset1:152
	v_mul_f64 v[84:85], v[84:85], v[140:141]
	v_add_f64 v[115:116], v[115:116], v[168:169]
	ds_read_b64 v[182:183], v136
	v_fma_f64 v[123:124], v[88:89], v[102:103], v[123:124]
	s_waitcnt lgkmcnt(2)
	v_fma_f64 v[134:135], v[156:157], v[106:107], v[134:135]
	v_mul_f64 v[88:89], v[88:89], v[104:105]
	s_waitcnt lgkmcnt(1)
	v_mul_f64 v[104:105], v[160:161], v[112:113]
	v_fma_f64 v[112:113], v[160:161], v[110:111], v[172:173]
	v_mul_f64 v[108:109], v[156:157], v[108:109]
	v_fma_f64 v[160:161], v[62:63], v[138:139], -v[84:85]
	v_fma_f64 v[84:85], v[120:121], s[0:1], v[6:7]
	v_fma_f64 v[62:63], v[10:11], s[0:1], v[92:93]
	v_add_f64 v[156:157], v[134:135], v[174:175]
	v_fma_f64 v[66:67], v[66:67], v[102:103], -v[88:89]
	v_fma_f64 v[110:111], v[32:33], v[110:111], -v[104:105]
	ds_read_b64 v[102:103], v137
	v_fma_f64 v[106:107], v[28:29], v[106:107], -v[108:109]
	v_add_f64 v[28:29], v[123:124], v[112:113]
	v_add_f64 v[140:141], v[123:124], -v[134:135]
	v_add_f64 v[32:33], v[112:113], -v[174:175]
	s_waitcnt lgkmcnt(0)
	v_fma_f64 v[104:105], v[156:157], -0.5, v[102:103]
	v_fma_f64 v[88:89], v[10:11], s[0:1], v[98:99]
	v_add_f64 v[108:109], v[66:67], -v[110:111]
	v_add_f64 v[92:93], v[115:116], v[166:167]
	v_add_f64 v[6:7], v[106:107], -v[160:161]
	v_fma_f64 v[10:11], v[28:29], -0.5, v[102:103]
	v_add_f64 v[115:116], v[134:135], -v[123:124]
	v_add_f64 v[28:29], v[140:141], v[32:33]
	v_add_f64 v[120:121], v[174:175], -v[112:113]
	v_add_f64 v[102:103], v[134:135], v[102:103]
	v_fma_f64 v[32:33], v[108:109], s[14:15], v[104:105]
	v_fma_f64 v[98:99], v[108:109], s[8:9], v[104:105]
	v_add_f64 v[104:105], v[106:107], v[160:161]
	v_fma_f64 v[136:137], v[6:7], s[8:9], v[10:11]
	v_fma_f64 v[10:11], v[6:7], s[14:15], v[10:11]
	v_add_f64 v[156:157], v[123:124], -v[112:113]
	v_add_f64 v[178:179], v[134:135], -v[174:175]
	v_add_f64 v[102:103], v[123:124], v[102:103]
	v_fma_f64 v[32:33], v[6:7], s[4:5], v[32:33]
	v_fma_f64 v[6:7], v[6:7], s[6:7], v[98:99]
	v_fma_f64 v[138:139], v[104:105], -0.5, v[132:133]
	v_add_f64 v[98:99], v[115:116], v[120:121]
	v_fma_f64 v[10:11], v[108:109], s[6:7], v[10:11]
	v_fma_f64 v[115:116], v[108:109], s[4:5], v[136:137]
	v_add_f64 v[120:121], v[66:67], -v[106:107]
	v_add_f64 v[123:124], v[110:111], -v[160:161]
	v_lshlrev_b32_e32 v117, 2, v176
	v_fma_f64 v[104:105], v[28:29], s[0:1], v[32:33]
	v_fma_f64 v[136:137], v[156:157], s[8:9], v[138:139]
	;; [unrolled: 1-line block ×4, first 2 shown]
	v_add_f64 v[10:11], v[112:113], v[102:103]
	v_lshlrev_b64 v[112:113], 4, v[117:118]
	v_fma_f64 v[28:29], v[98:99], s[0:1], v[115:116]
	v_add_f64 v[6:7], v[66:67], v[110:111]
	v_add_f64 v[98:99], v[120:121], v[123:124]
	v_fma_f64 v[115:116], v[156:157], s[14:15], v[138:139]
	v_add_f64 v[120:121], v[106:107], -v[66:67]
	v_add_f64 v[123:124], v[160:161], -v[110:111]
	v_add_co_u32_e32 v180, vcc, s12, v112
	v_addc_co_u32_e32 v181, vcc, v119, v113, vcc
	v_fma_f64 v[102:103], v[178:179], s[6:7], v[136:137]
	global_load_dwordx4 v[134:137], v[180:181], off offset:1808
	global_load_dwordx4 v[138:141], v[180:181], off offset:1792
	;; [unrolled: 1-line block ×3, first 2 shown]
	v_add_f64 v[112:113], v[174:175], v[10:11]
	v_add_u32_e32 v117, 0x400, v237
	ds_read2_b64 v[170:173], v122 offset0:237 offset1:254
	ds_read2_b64 v[174:177], v117 offset0:127 offset1:144
	v_fma_f64 v[6:7], v[6:7], -0.5, v[132:133]
	v_fma_f64 v[10:11], v[178:179], s[4:5], v[115:116]
	v_add_f64 v[115:116], v[120:121], v[123:124]
	s_waitcnt vmcnt(4)
	v_mul_f64 v[123:124], v[20:21], v[152:153]
	v_add_f64 v[106:107], v[132:133], v[106:107]
	s_waitcnt lgkmcnt(0)
	v_mul_f64 v[132:133], v[176:177], v[144:145]
	s_waitcnt vmcnt(3)
	v_mul_f64 v[186:187], v[158:159], v[164:165]
	v_mul_f64 v[144:145], v[24:25], v[144:145]
	;; [unrolled: 1-line block ×5, first 2 shown]
	v_fma_f64 v[123:124], v[172:173], v[150:151], v[123:124]
	v_fma_f64 v[184:185], v[178:179], s[14:15], v[6:7]
	v_fma_f64 v[132:133], v[24:25], v[142:143], -v[132:133]
	v_add_f64 v[24:25], v[66:67], v[106:107]
	v_fma_f64 v[66:67], v[176:177], v[142:143], v[144:145]
	v_fma_f64 v[142:143], v[158:159], v[162:163], v[164:165]
	v_fma_f64 v[164:165], v[20:21], v[150:151], -v[152:153]
	buffer_load_dword v20, off, s[64:67], 0 offset:32 ; 4-byte Folded Reload
	v_fma_f64 v[120:121], v[154:155], v[146:147], v[120:121]
	v_fma_f64 v[6:7], v[178:179], s[8:9], v[6:7]
	v_mul_f64 v[148:149], v[154:155], v[148:149]
	v_fma_f64 v[172:173], v[30:31], v[162:163], -v[186:187]
	v_add_f64 v[24:25], v[24:25], v[110:111]
	v_add_f64 v[150:151], v[142:143], -v[123:124]
	v_fma_f64 v[102:103], v[98:99], s[0:1], v[102:103]
	v_fma_f64 v[30:31], v[98:99], s[0:1], v[10:11]
	v_add_f64 v[154:155], v[120:121], v[123:124]
	v_fma_f64 v[6:7], v[156:157], s[4:5], v[6:7]
	v_fma_f64 v[162:163], v[26:27], v[146:147], -v[148:149]
	v_add_f64 v[144:145], v[132:133], -v[172:173]
	v_add_f64 v[148:149], v[66:67], v[142:143]
	v_fma_f64 v[26:27], v[156:157], s[6:7], v[184:185]
	v_add_f64 v[146:147], v[66:67], -v[120:121]
	v_add_f64 v[110:111], v[24:25], v[160:161]
	v_add_f64 v[24:25], v[120:121], v[182:183]
	v_fma_f64 v[106:107], v[115:116], s[0:1], v[6:7]
	v_add_f64 v[152:153], v[162:163], -v[164:165]
	global_load_dwordx4 v[178:181], v[180:181], off offset:1824
	v_fma_f64 v[6:7], v[148:149], -0.5, v[182:183]
	v_fma_f64 v[26:27], v[115:116], s[0:1], v[26:27]
	v_add_f64 v[10:11], v[146:147], v[150:151]
	v_add_f64 v[146:147], v[162:163], v[164:165]
	v_add_f64 v[148:149], v[120:121], -v[66:67]
	v_add_f64 v[150:151], v[123:124], -v[142:143]
	v_add_f64 v[24:25], v[66:67], v[24:25]
	v_add_f64 v[66:67], v[66:67], -v[142:143]
	v_add_f64 v[188:189], v[162:163], -v[132:133]
	v_add_f64 v[142:143], v[142:143], v[24:25]
	s_waitcnt vmcnt(4)
	v_mul_f64 v[196:197], v[174:175], v[136:137]
	s_waitcnt vmcnt(3)
	v_mul_f64 v[158:159], v[4:5], v[140:141]
	;; [unrolled: 2-line block ×3, first 2 shown]
	v_mul_f64 v[136:137], v[22:23], v[136:137]
	v_fma_f64 v[194:195], v[170:171], v[166:167], v[160:161]
	s_waitcnt vmcnt(1)
	ds_read_b64 v[176:177], v20
	v_fma_f64 v[20:21], v[154:155], -0.5, v[182:183]
	v_add_f64 v[182:183], v[120:121], -v[123:124]
	v_add_f64 v[120:121], v[123:124], v[142:143]
	v_fma_f64 v[154:155], v[144:145], s[14:15], v[20:21]
	v_fma_f64 v[115:116], v[144:145], s[8:9], v[20:21]
	;; [unrolled: 1-line block ×6, first 2 shown]
	v_add_f64 v[152:153], v[172:173], -v[164:165]
	v_fma_f64 v[20:21], v[10:11], s[0:1], v[98:99]
	v_fma_f64 v[98:99], v[146:147], -0.5, v[130:131]
	v_add_f64 v[146:147], v[148:149], v[150:151]
	v_fma_f64 v[148:149], v[144:145], s[4:5], v[154:155]
	v_fma_f64 v[144:145], v[144:145], s[6:7], v[6:7]
	v_add_f64 v[150:151], v[132:133], -v[162:163]
	v_fma_f64 v[24:25], v[10:11], s[0:1], v[115:116]
	v_mov_b32_e32 v115, v118
	v_lshlrev_b64 v[114:115], 4, v[114:115]
	v_fma_f64 v[154:155], v[66:67], s[8:9], v[98:99]
	v_add_co_u32_e32 v114, vcc, s12, v114
	v_addc_co_u32_e32 v115, vcc, v119, v115, vcc
	v_fma_f64 v[6:7], v[146:147], s[0:1], v[148:149]
	v_fma_f64 v[116:117], v[146:147], s[0:1], v[144:145]
	v_add_f64 v[184:185], v[150:151], v[152:153]
	global_load_dwordx4 v[142:145], v[114:115], off offset:1808
	global_load_dwordx4 v[146:149], v[114:115], off offset:1792
	ds_read2_b64 v[150:153], v237 offset0:119 offset1:136
	v_fma_f64 v[186:187], v[182:183], s[6:7], v[154:155]
	global_load_dwordx4 v[154:157], v[114:115], off offset:1840
	v_add_f64 v[10:11], v[132:133], v[172:173]
	ds_read2_b64 v[122:125], v122 offset0:101 offset1:118
	s_waitcnt lgkmcnt(1)
	v_mul_f64 v[140:141], v[152:153], v[140:141]
	v_fma_f64 v[192:193], v[152:153], v[138:139], v[158:159]
	global_load_dwordx4 v[158:161], v[114:115], off offset:1824
	v_fma_f64 v[98:99], v[66:67], s[14:15], v[98:99]
	s_waitcnt vmcnt(4) lgkmcnt(0)
	v_mul_f64 v[114:115], v[124:125], v[180:181]
	v_add_f64 v[118:119], v[164:165], -v[172:173]
	v_fma_f64 v[10:11], v[10:11], -0.5, v[130:131]
	v_mul_f64 v[180:181], v[16:17], v[180:181]
	v_fma_f64 v[138:139], v[4:5], v[138:139], -v[140:141]
	buffer_load_dword v4, off, s[64:67], 0  ; 4-byte Folded Reload
	v_mul_f64 v[152:153], v[170:171], v[168:169]
	v_fma_f64 v[98:99], v[182:183], s[4:5], v[98:99]
	v_add_f64 v[168:169], v[192:193], v[194:195]
	v_fma_f64 v[170:171], v[22:23], v[134:135], -v[196:197]
	v_fma_f64 v[190:191], v[182:183], s[14:15], v[10:11]
	v_fma_f64 v[10:11], v[182:183], s[8:9], v[10:11]
	v_fma_f64 v[182:183], v[16:17], v[178:179], -v[114:115]
	v_add_f64 v[16:17], v[130:131], v[162:163]
	v_fma_f64 v[130:131], v[174:175], v[134:135], v[136:137]
	v_fma_f64 v[124:125], v[124:125], v[178:179], v[180:181]
	v_fma_f64 v[140:141], v[18:19], v[166:167], -v[152:153]
	v_fma_f64 v[134:135], v[168:169], -0.5, v[176:177]
	v_add_f64 v[114:115], v[188:189], v[118:119]
	v_fma_f64 v[10:11], v[66:67], s[4:5], v[10:11]
	v_add_f64 v[136:137], v[170:171], -v[182:183]
	v_add_f64 v[16:17], v[132:133], v[16:17]
	v_fma_f64 v[22:23], v[184:185], s[0:1], v[98:99]
	v_add_f64 v[118:119], v[124:125], -v[194:195]
	v_add_f64 v[162:163], v[138:139], -v[140:141]
	;; [unrolled: 1-line block ×3, first 2 shown]
	v_add_f64 v[168:169], v[138:139], v[140:141]
	s_mov_b32 s12, 0x44d72045
	v_fma_f64 v[132:133], v[136:137], s[14:15], v[134:135]
	v_add_f64 v[16:17], v[16:17], v[172:173]
	v_fma_f64 v[134:135], v[136:137], s[8:9], v[134:135]
	v_add_f64 v[172:173], v[194:195], -v[124:125]
	v_fma_f64 v[18:19], v[184:185], s[0:1], v[186:187]
	v_fma_f64 v[98:99], v[162:163], s[4:5], v[132:133]
	v_add_f64 v[166:167], v[166:167], v[172:173]
	v_add_f64 v[172:173], v[170:171], v[182:183]
	s_waitcnt vmcnt(0)
	ds_read_b64 v[152:153], v4
	v_fma_f64 v[4:5], v[66:67], s[6:7], v[190:191]
	v_add_f64 v[66:67], v[130:131], -v[192:193]
	v_fma_f64 v[4:5], v[114:115], s[0:1], v[4:5]
	v_fma_f64 v[114:115], v[114:115], s[0:1], v[10:11]
	v_add_f64 v[10:11], v[130:131], v[124:125]
	v_add_f64 v[66:67], v[66:67], v[118:119]
	;; [unrolled: 1-line block ×4, first 2 shown]
	v_add_f64 v[164:165], v[130:131], -v[124:125]
	v_fma_f64 v[10:11], v[10:11], -0.5, v[176:177]
	v_fma_f64 v[132:133], v[66:67], s[0:1], v[98:99]
	v_fma_f64 v[98:99], v[162:163], s[6:7], v[134:135]
	v_fma_f64 v[134:135], v[168:169], -0.5, v[128:129]
	v_add_f64 v[16:17], v[130:131], v[16:17]
	v_add_f64 v[130:131], v[170:171], -v[138:139]
	v_add_f64 v[176:177], v[192:193], -v[194:195]
	v_fma_f64 v[168:169], v[162:163], s[8:9], v[10:11]
	v_fma_f64 v[10:11], v[162:163], s[14:15], v[10:11]
	v_add_f64 v[162:163], v[182:183], -v[140:141]
	v_fma_f64 v[174:175], v[164:165], s[8:9], v[134:135]
	v_fma_f64 v[134:135], v[164:165], s[14:15], v[134:135]
	v_fma_f64 v[168:169], v[136:137], s[4:5], v[168:169]
	v_fma_f64 v[178:179], v[136:137], s[6:7], v[10:11]
	v_fma_f64 v[136:137], v[66:67], s[0:1], v[98:99]
	v_add_f64 v[66:67], v[124:125], v[16:17]
	v_fma_f64 v[124:125], v[172:173], -0.5, v[128:129]
	v_add_f64 v[162:163], v[130:131], v[162:163]
	v_fma_f64 v[130:131], v[176:177], s[6:7], v[174:175]
	v_fma_f64 v[134:135], v[176:177], s[4:5], v[134:135]
	;; [unrolled: 1-line block ×4, first 2 shown]
	v_add_f64 v[166:167], v[138:139], -v[170:171]
	v_add_f64 v[168:169], v[140:141], -v[182:183]
	v_fma_f64 v[172:173], v[176:177], s[14:15], v[124:125]
	v_add_f64 v[98:99], v[194:195], v[66:67]
	v_fma_f64 v[66:67], v[176:177], s[8:9], v[124:125]
	v_fma_f64 v[130:131], v[162:163], s[0:1], v[130:131]
	v_mul_f64 v[124:125], v[2:3], v[148:149]
	v_fma_f64 v[134:135], v[162:163], s[0:1], v[134:135]
	v_mul_f64 v[162:163], v[8:9], v[156:157]
	v_add_f64 v[166:167], v[166:167], v[168:169]
	v_fma_f64 v[168:169], v[164:165], s[6:7], v[172:173]
	v_add_f64 v[128:129], v[128:129], v[138:139]
	v_mul_f64 v[138:139], v[12:13], v[144:145]
	v_fma_f64 v[66:67], v[164:165], s[4:5], v[66:67]
	v_mul_f64 v[164:165], v[14:15], v[160:161]
	v_fma_f64 v[124:125], v[150:151], v[146:147], v[124:125]
	v_fma_f64 v[162:163], v[100:101], v[154:155], v[162:163]
	v_mul_f64 v[144:145], v[96:97], v[144:145]
	v_mul_f64 v[160:161], v[122:123], v[160:161]
	v_add_f64 v[128:129], v[170:171], v[128:129]
	v_fma_f64 v[138:139], v[96:97], v[142:143], v[138:139]
	v_mul_f64 v[96:97], v[150:151], v[148:149]
	v_mul_f64 v[100:101], v[100:101], v[156:157]
	v_fma_f64 v[122:123], v[122:123], v[158:159], v[164:165]
	v_add_f64 v[148:149], v[124:125], v[162:163]
	v_fma_f64 v[12:13], v[12:13], v[142:143], -v[144:145]
	v_fma_f64 v[142:143], v[14:15], v[158:159], -v[160:161]
	v_add_f64 v[128:129], v[128:129], v[182:183]
	v_add_f64 v[144:145], v[138:139], -v[124:125]
	v_fma_f64 v[2:3], v[2:3], v[146:147], -v[96:97]
	v_fma_f64 v[100:101], v[8:9], v[154:155], -v[100:101]
	v_add_f64 v[146:147], v[138:139], v[122:123]
	v_add_f64 v[150:151], v[122:123], -v[162:163]
	s_waitcnt lgkmcnt(0)
	v_fma_f64 v[148:149], v[148:149], -0.5, v[152:153]
	v_add_f64 v[154:155], v[12:13], -v[142:143]
	v_fma_f64 v[14:15], v[166:167], s[0:1], v[66:67]
	v_add_f64 v[96:97], v[128:129], v[140:141]
	v_add_f64 v[156:157], v[162:163], -v[122:123]
	v_add_f64 v[66:67], v[2:3], -v[100:101]
	v_fma_f64 v[128:129], v[146:147], -0.5, v[152:153]
	v_add_f64 v[140:141], v[144:145], v[150:151]
	v_add_f64 v[150:151], v[124:125], -v[138:139]
	v_fma_f64 v[146:147], v[154:155], s[14:15], v[148:149]
	v_fma_f64 v[148:149], v[154:155], s[8:9], v[148:149]
	v_add_f64 v[144:145], v[124:125], v[152:153]
	v_add_f64 v[152:153], v[2:3], v[100:101]
	v_fma_f64 v[8:9], v[166:167], s[0:1], v[168:169]
	v_fma_f64 v[158:159], v[66:67], s[8:9], v[128:129]
	;; [unrolled: 1-line block ×3, first 2 shown]
	v_add_f64 v[166:167], v[124:125], -v[162:163]
	v_fma_f64 v[146:147], v[66:67], s[4:5], v[146:147]
	v_fma_f64 v[66:67], v[66:67], s[6:7], v[148:149]
	v_add_f64 v[148:149], v[150:151], v[156:157]
	v_add_f64 v[144:145], v[138:139], v[144:145]
	v_add_f64 v[138:139], v[138:139], -v[122:123]
	v_fma_f64 v[150:151], v[154:155], s[4:5], v[158:159]
	v_add_f64 v[158:159], v[12:13], v[142:143]
	v_fma_f64 v[152:153], v[152:153], -0.5, v[126:127]
	v_fma_f64 v[154:155], v[154:155], s[6:7], v[128:129]
	v_fma_f64 v[128:129], v[140:141], s[0:1], v[66:67]
	v_add_f64 v[156:157], v[12:13], -v[2:3]
	v_add_f64 v[160:161], v[142:143], -v[100:101]
	v_add_f64 v[122:123], v[122:123], v[144:145]
	v_fma_f64 v[124:125], v[140:141], s[0:1], v[146:147]
	v_fma_f64 v[66:67], v[158:159], -0.5, v[126:127]
	v_add_f64 v[126:127], v[126:127], v[2:3]
	v_fma_f64 v[164:165], v[138:139], s[8:9], v[152:153]
	v_fma_f64 v[140:141], v[148:149], s[0:1], v[150:151]
	;; [unrolled: 1-line block ×4, first 2 shown]
	v_add_f64 v[2:3], v[2:3], -v[12:13]
	v_add_f64 v[152:153], v[100:101], -v[142:143]
	v_fma_f64 v[154:155], v[166:167], s[14:15], v[66:67]
	v_fma_f64 v[66:67], v[166:167], s[8:9], v[66:67]
	v_add_f64 v[12:13], v[12:13], v[126:127]
	v_add_f64 v[146:147], v[156:157], v[160:161]
	v_mul_hi_u32 v156, v234, s12
	s_movk_i32 s8, 0x77
	v_add_f64 v[148:149], v[162:163], v[122:123]
	v_fma_f64 v[122:123], v[166:167], s[6:7], v[164:165]
	v_lshrrev_b32_e32 v126, 5, v156
	v_mul_lo_u32 v126, v126, s8
	v_fma_f64 v[150:151], v[166:167], s[4:5], v[150:151]
	v_add_f64 v[2:3], v[2:3], v[152:153]
	v_fma_f64 v[152:153], v[138:139], s[6:7], v[154:155]
	v_fma_f64 v[66:67], v[138:139], s[4:5], v[66:67]
	v_add_f64 v[12:13], v[12:13], v[142:143]
	v_sub_u32_e32 v156, v234, v126
	v_mad_u64_u32 v[154:155], s[4:5], s2, v156, 0
	v_fma_f64 v[122:123], v[146:147], s[0:1], v[122:123]
	v_fma_f64 v[126:127], v[146:147], s[0:1], v[150:151]
	v_mov_b32_e32 v138, v155
	v_mad_u64_u32 v[150:151], s[4:5], s3, v156, v[138:139]
	v_fma_f64 v[138:139], v[2:3], s[0:1], v[152:153]
	v_fma_f64 v[142:143], v[2:3], s[0:1], v[66:67]
	v_add_f64 v[146:147], v[12:13], v[100:101]
	v_mov_b32_e32 v2, s11
	v_add_co_u32_e32 v12, vcc, s10, v0
	v_add_u32_e32 v66, 0x77, v156
	v_addc_co_u32_e32 v13, vcc, v2, v1, vcc
	v_mad_u64_u32 v[2:3], s[0:1], s2, v66, 0
	v_lshlrev_b64 v[0:1], 4, v[230:231]
	v_mov_b32_e32 v155, v150
	v_add_co_u32_e32 v0, vcc, v12, v0
	v_mad_u64_u32 v[66:67], s[0:1], s3, v66, v[3:4]
	v_addc_co_u32_e32 v1, vcc, v13, v1, vcc
	v_lshlrev_b64 v[12:13], 4, v[154:155]
	v_mov_b32_e32 v3, v66
	v_add_co_u32_e32 v12, vcc, v0, v12
	v_addc_co_u32_e32 v13, vcc, v1, v13, vcc
	v_add_u32_e32 v66, 0xee, v156
	global_store_dwordx4 v[12:13], v[146:149], off
	v_mad_u64_u32 v[12:13], s[0:1], s2, v66, 0
	v_lshlrev_b64 v[2:3], 4, v[2:3]
	v_mad_u64_u32 v[66:67], s[0:1], s3, v66, v[13:14]
	v_add_u32_e32 v67, 0x165, v156
	v_mad_u64_u32 v[100:101], s[0:1], s2, v67, 0
	v_add_co_u32_e32 v2, vcc, v0, v2
	v_addc_co_u32_e32 v3, vcc, v1, v3, vcc
	v_mov_b32_e32 v13, v66
	global_store_dwordx4 v[2:3], v[142:145], off
	v_lshlrev_b64 v[2:3], 4, v[12:13]
	v_mov_b32_e32 v12, v101
	v_mad_u64_u32 v[12:13], s[0:1], s3, v67, v[12:13]
	v_add_co_u32_e32 v2, vcc, v0, v2
	v_addc_co_u32_e32 v3, vcc, v1, v3, vcc
	v_mov_b32_e32 v101, v12
	v_add_u32_e32 v67, 17, v234
	global_store_dwordx4 v[2:3], v[126:129], off
	v_lshlrev_b64 v[2:3], 4, v[100:101]
	v_mul_hi_u32 v100, v67, s12
	v_add_u32_e32 v66, 0x1dc, v156
	v_mad_u64_u32 v[12:13], s[0:1], s2, v66, 0
	v_lshrrev_b32_e32 v100, 5, v100
	v_add_co_u32_e32 v2, vcc, v0, v2
	v_mul_lo_u32 v101, v100, s8
	v_addc_co_u32_e32 v3, vcc, v1, v3, vcc
	global_store_dwordx4 v[2:3], v[122:125], off
	v_mov_b32_e32 v2, v13
	v_mad_u64_u32 v[2:3], s[0:1], s3, v66, v[2:3]
	v_sub_u32_e32 v3, v67, v101
	s_movk_i32 s0, 0x253
	v_mad_u64_u32 v[66:67], s[4:5], v100, s0, v[3:4]
	v_mov_b32_e32 v13, v2
	v_lshlrev_b64 v[2:3], 4, v[12:13]
	v_mad_u64_u32 v[12:13], s[4:5], s2, v66, 0
	v_add_u32_e32 v67, 0x77, v66
	v_mad_u64_u32 v[122:123], s[4:5], s2, v67, 0
	v_mad_u64_u32 v[100:101], s[4:5], s3, v66, v[13:14]
	v_add_co_u32_e32 v2, vcc, v0, v2
	v_addc_co_u32_e32 v3, vcc, v1, v3, vcc
	v_mov_b32_e32 v13, v100
	global_store_dwordx4 v[2:3], v[138:141], off
	v_lshlrev_b64 v[2:3], 4, v[12:13]
	v_mov_b32_e32 v12, v123
	v_mad_u64_u32 v[12:13], s[4:5], s3, v67, v[12:13]
	v_add_u32_e32 v67, 0xee, v66
	v_add_co_u32_e32 v2, vcc, v0, v2
	v_mov_b32_e32 v123, v12
	v_mad_u64_u32 v[12:13], s[4:5], s2, v67, 0
	v_addc_co_u32_e32 v3, vcc, v1, v3, vcc
	global_store_dwordx4 v[2:3], v[96:99], off
	v_lshlrev_b64 v[2:3], 4, v[122:123]
	v_mad_u64_u32 v[96:97], s[4:5], s3, v67, v[13:14]
	v_add_u32_e32 v67, 0x165, v66
	v_mad_u64_u32 v[97:98], s[4:5], s2, v67, 0
	v_add_co_u32_e32 v2, vcc, v0, v2
	v_addc_co_u32_e32 v3, vcc, v1, v3, vcc
	v_mov_b32_e32 v13, v96
	global_store_dwordx4 v[2:3], v[14:17], off
	v_lshlrev_b64 v[2:3], 4, v[12:13]
	v_mov_b32_e32 v12, v98
	v_mad_u64_u32 v[12:13], s[4:5], s3, v67, v[12:13]
	v_add_u32_e32 v15, 34, v234
	v_mul_hi_u32 v16, v15, s12
	v_add_co_u32_e32 v2, vcc, v0, v2
	v_addc_co_u32_e32 v3, vcc, v1, v3, vcc
	v_mov_b32_e32 v98, v12
	v_add_u32_e32 v14, 0x1dc, v66
	global_store_dwordx4 v[2:3], v[134:137], off
	v_lshlrev_b64 v[2:3], 4, v[97:98]
	v_mad_u64_u32 v[12:13], s[4:5], s2, v14, 0
	v_lshrrev_b32_e32 v16, 5, v16
	v_add_co_u32_e32 v2, vcc, v0, v2
	v_mul_lo_u32 v17, v16, s8
	v_addc_co_u32_e32 v3, vcc, v1, v3, vcc
	global_store_dwordx4 v[2:3], v[130:133], off
	v_mov_b32_e32 v2, v13
	v_mad_u64_u32 v[2:3], s[4:5], s3, v14, v[2:3]
	v_sub_u32_e32 v3, v15, v17
	v_mad_u64_u32 v[14:15], s[4:5], v16, s0, v[3:4]
	v_mov_b32_e32 v13, v2
	v_lshlrev_b64 v[2:3], 4, v[12:13]
	v_mad_u64_u32 v[12:13], s[4:5], s2, v14, 0
	v_add_u32_e32 v66, 0x77, v14
	v_add_co_u32_e32 v2, vcc, v0, v2
	v_mad_u64_u32 v[15:16], s[4:5], s3, v14, v[13:14]
	v_mad_u64_u32 v[16:17], s[4:5], s2, v66, 0
	v_addc_co_u32_e32 v3, vcc, v1, v3, vcc
	global_store_dwordx4 v[2:3], v[8:11], off
	v_mov_b32_e32 v13, v15
	v_mov_b32_e32 v8, v17
	v_mad_u64_u32 v[8:9], s[4:5], s3, v66, v[8:9]
	v_add_u32_e32 v10, 0xee, v14
	v_lshlrev_b64 v[2:3], 4, v[12:13]
	v_mov_b32_e32 v17, v8
	v_mad_u64_u32 v[8:9], s[4:5], s2, v10, 0
	v_add_co_u32_e32 v2, vcc, v0, v2
	v_addc_co_u32_e32 v3, vcc, v1, v3, vcc
	v_mad_u64_u32 v[9:10], s[4:5], s3, v10, v[9:10]
	v_add_u32_e32 v12, 0x165, v14
	global_store_dwordx4 v[2:3], v[118:121], off
	v_lshlrev_b64 v[2:3], 4, v[16:17]
	v_mad_u64_u32 v[10:11], s[4:5], s2, v12, 0
	v_add_co_u32_e32 v2, vcc, v0, v2
	v_addc_co_u32_e32 v3, vcc, v1, v3, vcc
	global_store_dwordx4 v[2:3], v[114:117], off
	v_lshlrev_b64 v[2:3], 4, v[8:9]
	v_mov_b32_e32 v8, v11
	v_mad_u64_u32 v[8:9], s[4:5], s3, v12, v[8:9]
	v_add_co_u32_e32 v2, vcc, v0, v2
	v_addc_co_u32_e32 v3, vcc, v1, v3, vcc
	v_mov_b32_e32 v11, v8
	global_store_dwordx4 v[2:3], v[22:25], off
	v_lshlrev_b64 v[2:3], 4, v[10:11]
	v_add_u32_e32 v11, 51, v234
	v_mul_hi_u32 v12, v11, s12
	v_add_u32_e32 v10, 0x1dc, v14
	v_mad_u64_u32 v[8:9], s[4:5], s2, v10, 0
	v_lshrrev_b32_e32 v12, 5, v12
	v_add_co_u32_e32 v2, vcc, v0, v2
	v_mul_lo_u32 v13, v12, s8
	v_addc_co_u32_e32 v3, vcc, v1, v3, vcc
	global_store_dwordx4 v[2:3], v[18:21], off
	v_mov_b32_e32 v2, v9
	v_mad_u64_u32 v[2:3], s[4:5], s3, v10, v[2:3]
	v_sub_u32_e32 v3, v11, v13
	v_mad_u64_u32 v[10:11], s[4:5], v12, s0, v[3:4]
	v_mov_b32_e32 v9, v2
	v_lshlrev_b64 v[2:3], 4, v[8:9]
	v_mad_u64_u32 v[8:9], s[4:5], s2, v10, 0
	v_add_u32_e32 v14, 0x77, v10
	v_add_co_u32_e32 v2, vcc, v0, v2
	v_mad_u64_u32 v[11:12], s[4:5], s3, v10, v[9:10]
	v_mad_u64_u32 v[12:13], s[4:5], s2, v14, 0
	v_addc_co_u32_e32 v3, vcc, v1, v3, vcc
	global_store_dwordx4 v[2:3], v[4:7], off
	v_mov_b32_e32 v9, v11
	v_mov_b32_e32 v4, v13
	v_mad_u64_u32 v[4:5], s[4:5], s3, v14, v[4:5]
	v_add_u32_e32 v6, 0xee, v10
	v_lshlrev_b64 v[2:3], 4, v[8:9]
	v_mov_b32_e32 v13, v4
	v_mad_u64_u32 v[4:5], s[4:5], s2, v6, 0
	v_add_co_u32_e32 v2, vcc, v0, v2
	v_addc_co_u32_e32 v3, vcc, v1, v3, vcc
	v_mad_u64_u32 v[5:6], s[4:5], s3, v6, v[5:6]
	v_add_u32_e32 v8, 0x165, v10
	global_store_dwordx4 v[2:3], v[110:113], off
	v_lshlrev_b64 v[2:3], 4, v[12:13]
	v_mad_u64_u32 v[6:7], s[4:5], s2, v8, 0
	v_add_co_u32_e32 v2, vcc, v0, v2
	v_addc_co_u32_e32 v3, vcc, v1, v3, vcc
	global_store_dwordx4 v[2:3], v[106:109], off
	v_lshlrev_b64 v[2:3], 4, v[4:5]
	v_mov_b32_e32 v4, v7
	v_mad_u64_u32 v[4:5], s[4:5], s3, v8, v[4:5]
	v_add_co_u32_e32 v2, vcc, v0, v2
	v_addc_co_u32_e32 v3, vcc, v1, v3, vcc
	v_mov_b32_e32 v7, v4
	global_store_dwordx4 v[2:3], v[30:33], off
	v_lshlrev_b64 v[2:3], 4, v[6:7]
	v_add_u32_e32 v7, 0x44, v234
	v_mul_hi_u32 v8, v7, s12
	v_add_u32_e32 v6, 0x1dc, v10
	v_mad_u64_u32 v[4:5], s[4:5], s2, v6, 0
	v_lshrrev_b32_e32 v8, 5, v8
	v_add_co_u32_e32 v2, vcc, v0, v2
	v_mul_lo_u32 v9, v8, s8
	v_addc_co_u32_e32 v3, vcc, v1, v3, vcc
	global_store_dwordx4 v[2:3], v[102:105], off
	v_mov_b32_e32 v2, v5
	v_mad_u64_u32 v[2:3], s[4:5], s3, v6, v[2:3]
	v_sub_u32_e32 v3, v7, v9
	v_mad_u64_u32 v[6:7], s[4:5], v8, s0, v[3:4]
	v_mov_b32_e32 v5, v2
	v_lshlrev_b64 v[2:3], 4, v[4:5]
	v_mad_u64_u32 v[4:5], s[4:5], s2, v6, 0
	v_add_u32_e32 v10, 0x77, v6
	v_add_co_u32_e32 v2, vcc, v0, v2
	v_mad_u64_u32 v[7:8], s[4:5], s3, v6, v[5:6]
	v_mad_u64_u32 v[8:9], s[4:5], s2, v10, 0
	v_addc_co_u32_e32 v3, vcc, v1, v3, vcc
	v_mov_b32_e32 v5, v7
	global_store_dwordx4 v[2:3], v[26:29], off
	v_lshlrev_b64 v[2:3], 4, v[4:5]
	v_mov_b32_e32 v4, v9
	v_mad_u64_u32 v[4:5], s[4:5], s3, v10, v[4:5]
	v_add_u32_e32 v7, 0xee, v6
	v_add_co_u32_e32 v2, vcc, v0, v2
	v_mov_b32_e32 v9, v4
	v_mad_u64_u32 v[4:5], s[4:5], s2, v7, 0
	v_addc_co_u32_e32 v3, vcc, v1, v3, vcc
	global_store_dwordx4 v[2:3], v[92:95], off
	v_lshlrev_b64 v[2:3], 4, v[8:9]
	v_mad_u64_u32 v[7:8], s[4:5], s3, v7, v[5:6]
	v_add_u32_e32 v10, 0x165, v6
	v_mad_u64_u32 v[8:9], s[4:5], s2, v10, 0
	v_add_co_u32_e32 v2, vcc, v0, v2
	v_addc_co_u32_e32 v3, vcc, v1, v3, vcc
	v_mov_b32_e32 v5, v7
	global_store_dwordx4 v[2:3], v[88:91], off
	v_lshlrev_b64 v[2:3], 4, v[4:5]
	v_mov_b32_e32 v4, v9
	v_mad_u64_u32 v[4:5], s[4:5], s3, v10, v[4:5]
	v_add_co_u32_e32 v2, vcc, v0, v2
	v_addc_co_u32_e32 v3, vcc, v1, v3, vcc
	v_mov_b32_e32 v9, v4
	v_add_u32_e32 v7, 0x55, v234
	global_store_dwordx4 v[2:3], v[84:87], off
	v_lshlrev_b64 v[2:3], 4, v[8:9]
	v_mul_hi_u32 v8, v7, s12
	v_add_u32_e32 v6, 0x1dc, v6
	v_mad_u64_u32 v[4:5], s[4:5], s2, v6, 0
	v_lshrrev_b32_e32 v8, 5, v8
	v_add_co_u32_e32 v2, vcc, v0, v2
	v_mul_lo_u32 v9, v8, s8
	v_addc_co_u32_e32 v3, vcc, v1, v3, vcc
	global_store_dwordx4 v[2:3], v[80:83], off
	v_mov_b32_e32 v2, v5
	v_mad_u64_u32 v[2:3], s[4:5], s3, v6, v[2:3]
	v_sub_u32_e32 v3, v7, v9
	v_mad_u64_u32 v[6:7], s[4:5], v8, s0, v[3:4]
	v_mov_b32_e32 v5, v2
	v_lshlrev_b64 v[2:3], 4, v[4:5]
	v_mad_u64_u32 v[4:5], s[4:5], s2, v6, 0
	v_add_u32_e32 v10, 0x77, v6
	v_add_co_u32_e32 v2, vcc, v0, v2
	v_mad_u64_u32 v[7:8], s[4:5], s3, v6, v[5:6]
	v_mad_u64_u32 v[8:9], s[4:5], s2, v10, 0
	v_addc_co_u32_e32 v3, vcc, v1, v3, vcc
	v_mov_b32_e32 v5, v7
	global_store_dwordx4 v[2:3], v[62:65], off
	v_lshlrev_b64 v[2:3], 4, v[4:5]
	v_mov_b32_e32 v4, v9
	v_mad_u64_u32 v[4:5], s[4:5], s3, v10, v[4:5]
	v_add_u32_e32 v7, 0xee, v6
	v_add_co_u32_e32 v2, vcc, v0, v2
	v_mov_b32_e32 v9, v4
	v_mad_u64_u32 v[4:5], s[4:5], s2, v7, 0
	v_addc_co_u32_e32 v3, vcc, v1, v3, vcc
	global_store_dwordx4 v[2:3], v[76:79], off
	v_lshlrev_b64 v[2:3], 4, v[8:9]
	v_mad_u64_u32 v[7:8], s[4:5], s3, v7, v[5:6]
	v_add_u32_e32 v10, 0x165, v6
	v_mad_u64_u32 v[8:9], s[4:5], s2, v10, 0
	v_add_co_u32_e32 v2, vcc, v0, v2
	v_addc_co_u32_e32 v3, vcc, v1, v3, vcc
	v_mov_b32_e32 v5, v7
	global_store_dwordx4 v[2:3], v[72:75], off
	v_lshlrev_b64 v[2:3], 4, v[4:5]
	v_mov_b32_e32 v4, v9
	v_mad_u64_u32 v[4:5], s[4:5], s3, v10, v[4:5]
	v_add_co_u32_e32 v2, vcc, v0, v2
	v_addc_co_u32_e32 v3, vcc, v1, v3, vcc
	v_mov_b32_e32 v9, v4
	v_add_u32_e32 v7, 0x66, v234
	global_store_dwordx4 v[2:3], v[68:71], off
	v_lshlrev_b64 v[2:3], 4, v[8:9]
	v_mul_hi_u32 v8, v7, s12
	v_add_u32_e32 v9, 0x1dc, v6
	v_mad_u64_u32 v[4:5], s[4:5], s2, v9, 0
	v_lshrrev_b32_e32 v8, 5, v8
	v_mul_lo_u32 v6, v8, s8
	v_add_co_u32_e32 v2, vcc, v0, v2
	v_addc_co_u32_e32 v3, vcc, v1, v3, vcc
	v_sub_u32_e32 v6, v7, v6
	v_mad_u64_u32 v[6:7], s[0:1], v8, s0, v[6:7]
	global_store_dwordx4 v[2:3], v[58:61], off
	v_mad_u64_u32 v[7:8], s[0:1], s3, v9, v[5:6]
	v_mad_u64_u32 v[8:9], s[0:1], s2, v6, 0
	v_mov_b32_e32 v5, v7
	v_lshlrev_b64 v[2:3], 4, v[4:5]
	v_mov_b32_e32 v4, v9
	v_mad_u64_u32 v[4:5], s[0:1], s3, v6, v[4:5]
	v_add_u32_e32 v7, 0x77, v6
	v_add_co_u32_e32 v2, vcc, v0, v2
	v_mov_b32_e32 v9, v4
	v_mad_u64_u32 v[4:5], s[0:1], s2, v7, 0
	v_addc_co_u32_e32 v3, vcc, v1, v3, vcc
	global_store_dwordx4 v[2:3], v[54:57], off
	v_lshlrev_b64 v[2:3], 4, v[8:9]
	v_mad_u64_u32 v[7:8], s[0:1], s3, v7, v[5:6]
	v_add_u32_e32 v10, 0xee, v6
	v_mad_u64_u32 v[8:9], s[0:1], s2, v10, 0
	v_add_co_u32_e32 v2, vcc, v0, v2
	v_addc_co_u32_e32 v3, vcc, v1, v3, vcc
	v_mov_b32_e32 v5, v7
	global_store_dwordx4 v[2:3], v[50:53], off
	v_lshlrev_b64 v[2:3], 4, v[4:5]
	v_mov_b32_e32 v4, v9
	v_mad_u64_u32 v[4:5], s[0:1], s3, v10, v[4:5]
	v_add_u32_e32 v7, 0x165, v6
	v_add_co_u32_e32 v2, vcc, v0, v2
	v_mov_b32_e32 v9, v4
	v_mad_u64_u32 v[4:5], s[0:1], s2, v7, 0
	v_addc_co_u32_e32 v3, vcc, v1, v3, vcc
	global_store_dwordx4 v[2:3], v[46:49], off
	v_lshlrev_b64 v[2:3], 4, v[8:9]
	v_mad_u64_u32 v[7:8], s[0:1], s3, v7, v[5:6]
	v_add_u32_e32 v6, 0x1dc, v6
	v_mad_u64_u32 v[8:9], s[0:1], s2, v6, 0
	v_add_co_u32_e32 v2, vcc, v0, v2
	v_addc_co_u32_e32 v3, vcc, v1, v3, vcc
	v_mov_b32_e32 v5, v7
	global_store_dwordx4 v[2:3], v[42:45], off
	v_lshlrev_b64 v[2:3], 4, v[4:5]
	v_mov_b32_e32 v4, v9
	v_mad_u64_u32 v[4:5], s[0:1], s3, v6, v[4:5]
	v_add_co_u32_e32 v2, vcc, v0, v2
	v_addc_co_u32_e32 v3, vcc, v1, v3, vcc
	v_mov_b32_e32 v9, v4
	global_store_dwordx4 v[2:3], v[38:41], off
	v_lshlrev_b64 v[2:3], 4, v[8:9]
	v_add_co_u32_e32 v0, vcc, v0, v2
	v_addc_co_u32_e32 v1, vcc, v1, v3, vcc
	global_store_dwordx4 v[0:1], v[34:37], off
.LBB0_22:
	s_endpgm
	.section	.rodata,"a",@progbits
	.p2align	6, 0x0
	.amdhsa_kernel fft_rtc_fwd_len595_factors_7_17_5_wgs_51_tpt_17_halfLds_dp_op_CI_CI_sbrr_dirReg
		.amdhsa_group_segment_fixed_size 0
		.amdhsa_private_segment_fixed_size 360
		.amdhsa_kernarg_size 104
		.amdhsa_user_sgpr_count 6
		.amdhsa_user_sgpr_private_segment_buffer 1
		.amdhsa_user_sgpr_dispatch_ptr 0
		.amdhsa_user_sgpr_queue_ptr 0
		.amdhsa_user_sgpr_kernarg_segment_ptr 1
		.amdhsa_user_sgpr_dispatch_id 0
		.amdhsa_user_sgpr_flat_scratch_init 0
		.amdhsa_user_sgpr_private_segment_size 0
		.amdhsa_uses_dynamic_stack 0
		.amdhsa_system_sgpr_private_segment_wavefront_offset 1
		.amdhsa_system_sgpr_workgroup_id_x 1
		.amdhsa_system_sgpr_workgroup_id_y 0
		.amdhsa_system_sgpr_workgroup_id_z 0
		.amdhsa_system_sgpr_workgroup_info 0
		.amdhsa_system_vgpr_workitem_id 0
		.amdhsa_next_free_vgpr 256
		.amdhsa_next_free_sgpr 68
		.amdhsa_reserve_vcc 1
		.amdhsa_reserve_flat_scratch 0
		.amdhsa_float_round_mode_32 0
		.amdhsa_float_round_mode_16_64 0
		.amdhsa_float_denorm_mode_32 3
		.amdhsa_float_denorm_mode_16_64 3
		.amdhsa_dx10_clamp 1
		.amdhsa_ieee_mode 1
		.amdhsa_fp16_overflow 0
		.amdhsa_exception_fp_ieee_invalid_op 0
		.amdhsa_exception_fp_denorm_src 0
		.amdhsa_exception_fp_ieee_div_zero 0
		.amdhsa_exception_fp_ieee_overflow 0
		.amdhsa_exception_fp_ieee_underflow 0
		.amdhsa_exception_fp_ieee_inexact 0
		.amdhsa_exception_int_div_zero 0
	.end_amdhsa_kernel
	.text
.Lfunc_end0:
	.size	fft_rtc_fwd_len595_factors_7_17_5_wgs_51_tpt_17_halfLds_dp_op_CI_CI_sbrr_dirReg, .Lfunc_end0-fft_rtc_fwd_len595_factors_7_17_5_wgs_51_tpt_17_halfLds_dp_op_CI_CI_sbrr_dirReg
                                        ; -- End function
	.section	.AMDGPU.csdata,"",@progbits
; Kernel info:
; codeLenInByte = 38376
; NumSgprs: 72
; NumVgprs: 256
; ScratchSize: 360
; MemoryBound: 1
; FloatMode: 240
; IeeeMode: 1
; LDSByteSize: 0 bytes/workgroup (compile time only)
; SGPRBlocks: 8
; VGPRBlocks: 63
; NumSGPRsForWavesPerEU: 72
; NumVGPRsForWavesPerEU: 256
; Occupancy: 1
; WaveLimiterHint : 1
; COMPUTE_PGM_RSRC2:SCRATCH_EN: 1
; COMPUTE_PGM_RSRC2:USER_SGPR: 6
; COMPUTE_PGM_RSRC2:TRAP_HANDLER: 0
; COMPUTE_PGM_RSRC2:TGID_X_EN: 1
; COMPUTE_PGM_RSRC2:TGID_Y_EN: 0
; COMPUTE_PGM_RSRC2:TGID_Z_EN: 0
; COMPUTE_PGM_RSRC2:TIDIG_COMP_CNT: 0
	.type	__hip_cuid_d136f2a55f8f7fee,@object ; @__hip_cuid_d136f2a55f8f7fee
	.section	.bss,"aw",@nobits
	.globl	__hip_cuid_d136f2a55f8f7fee
__hip_cuid_d136f2a55f8f7fee:
	.byte	0                               ; 0x0
	.size	__hip_cuid_d136f2a55f8f7fee, 1

	.ident	"AMD clang version 19.0.0git (https://github.com/RadeonOpenCompute/llvm-project roc-6.4.0 25133 c7fe45cf4b819c5991fe208aaa96edf142730f1d)"
	.section	".note.GNU-stack","",@progbits
	.addrsig
	.addrsig_sym __hip_cuid_d136f2a55f8f7fee
	.amdgpu_metadata
---
amdhsa.kernels:
  - .args:
      - .actual_access:  read_only
        .address_space:  global
        .offset:         0
        .size:           8
        .value_kind:     global_buffer
      - .offset:         8
        .size:           8
        .value_kind:     by_value
      - .actual_access:  read_only
        .address_space:  global
        .offset:         16
        .size:           8
        .value_kind:     global_buffer
      - .actual_access:  read_only
        .address_space:  global
        .offset:         24
        .size:           8
        .value_kind:     global_buffer
      - .actual_access:  read_only
        .address_space:  global
        .offset:         32
        .size:           8
        .value_kind:     global_buffer
      - .offset:         40
        .size:           8
        .value_kind:     by_value
      - .actual_access:  read_only
        .address_space:  global
        .offset:         48
        .size:           8
        .value_kind:     global_buffer
      - .actual_access:  read_only
        .address_space:  global
        .offset:         56
        .size:           8
        .value_kind:     global_buffer
      - .offset:         64
        .size:           4
        .value_kind:     by_value
      - .actual_access:  read_only
        .address_space:  global
        .offset:         72
        .size:           8
        .value_kind:     global_buffer
      - .actual_access:  read_only
        .address_space:  global
        .offset:         80
        .size:           8
        .value_kind:     global_buffer
      - .actual_access:  read_only
        .address_space:  global
        .offset:         88
        .size:           8
        .value_kind:     global_buffer
      - .actual_access:  write_only
        .address_space:  global
        .offset:         96
        .size:           8
        .value_kind:     global_buffer
    .group_segment_fixed_size: 0
    .kernarg_segment_align: 8
    .kernarg_segment_size: 104
    .language:       OpenCL C
    .language_version:
      - 2
      - 0
    .max_flat_workgroup_size: 51
    .name:           fft_rtc_fwd_len595_factors_7_17_5_wgs_51_tpt_17_halfLds_dp_op_CI_CI_sbrr_dirReg
    .private_segment_fixed_size: 360
    .sgpr_count:     72
    .sgpr_spill_count: 0
    .symbol:         fft_rtc_fwd_len595_factors_7_17_5_wgs_51_tpt_17_halfLds_dp_op_CI_CI_sbrr_dirReg.kd
    .uniform_work_group_size: 1
    .uses_dynamic_stack: false
    .vgpr_count:     256
    .vgpr_spill_count: 91
    .wavefront_size: 64
amdhsa.target:   amdgcn-amd-amdhsa--gfx906
amdhsa.version:
  - 1
  - 2
...

	.end_amdgpu_metadata
